;; amdgpu-corpus repo=ROCm/rocFFT kind=compiled arch=gfx1100 opt=O3
	.text
	.amdgcn_target "amdgcn-amd-amdhsa--gfx1100"
	.amdhsa_code_object_version 6
	.protected	fft_rtc_fwd_len1008_factors_2_2_2_2_3_3_7_wgs_56_tpt_56_halfLds_sp_op_CI_CI_unitstride_sbrr_dirReg ; -- Begin function fft_rtc_fwd_len1008_factors_2_2_2_2_3_3_7_wgs_56_tpt_56_halfLds_sp_op_CI_CI_unitstride_sbrr_dirReg
	.globl	fft_rtc_fwd_len1008_factors_2_2_2_2_3_3_7_wgs_56_tpt_56_halfLds_sp_op_CI_CI_unitstride_sbrr_dirReg
	.p2align	8
	.type	fft_rtc_fwd_len1008_factors_2_2_2_2_3_3_7_wgs_56_tpt_56_halfLds_sp_op_CI_CI_unitstride_sbrr_dirReg,@function
fft_rtc_fwd_len1008_factors_2_2_2_2_3_3_7_wgs_56_tpt_56_halfLds_sp_op_CI_CI_unitstride_sbrr_dirReg: ; @fft_rtc_fwd_len1008_factors_2_2_2_2_3_3_7_wgs_56_tpt_56_halfLds_sp_op_CI_CI_unitstride_sbrr_dirReg
; %bb.0:
	s_clause 0x2
	s_load_b128 s[4:7], s[0:1], 0x0
	s_load_b128 s[8:11], s[0:1], 0x58
	;; [unrolled: 1-line block ×3, first 2 shown]
	v_mul_u32_u24_e32 v1, 0x493, v0
	v_mov_b32_e32 v3, 0
	s_delay_alu instid0(VALU_DEP_2) | instskip(NEXT) | instid1(VALU_DEP_1)
	v_lshrrev_b32_e32 v1, 16, v1
	v_add_nc_u32_e32 v5, s15, v1
	v_mov_b32_e32 v1, 0
	v_mov_b32_e32 v2, 0
	;; [unrolled: 1-line block ×3, first 2 shown]
	s_waitcnt lgkmcnt(0)
	v_cmp_lt_u64_e64 s2, s[6:7], 2
	s_delay_alu instid0(VALU_DEP_1)
	s_and_b32 vcc_lo, exec_lo, s2
	s_cbranch_vccnz .LBB0_8
; %bb.1:
	s_load_b64 s[2:3], s[0:1], 0x10
	v_mov_b32_e32 v1, 0
	v_mov_b32_e32 v2, 0
	s_add_u32 s12, s18, 8
	s_addc_u32 s13, s19, 0
	s_add_u32 s14, s16, 8
	s_addc_u32 s15, s17, 0
	v_dual_mov_b32 v9, v2 :: v_dual_mov_b32 v8, v1
	s_mov_b64 s[22:23], 1
	s_waitcnt lgkmcnt(0)
	s_add_u32 s20, s2, 8
	s_addc_u32 s21, s3, 0
.LBB0_2:                                ; =>This Inner Loop Header: Depth=1
	s_load_b64 s[24:25], s[20:21], 0x0
                                        ; implicit-def: $vgpr10_vgpr11
	s_mov_b32 s2, exec_lo
	s_waitcnt lgkmcnt(0)
	v_or_b32_e32 v4, s25, v6
	s_delay_alu instid0(VALU_DEP_1)
	v_cmpx_ne_u64_e32 0, v[3:4]
	s_xor_b32 s3, exec_lo, s2
	s_cbranch_execz .LBB0_4
; %bb.3:                                ;   in Loop: Header=BB0_2 Depth=1
	v_cvt_f32_u32_e32 v4, s24
	v_cvt_f32_u32_e32 v7, s25
	s_sub_u32 s2, 0, s24
	s_subb_u32 s26, 0, s25
	s_delay_alu instid0(VALU_DEP_1) | instskip(NEXT) | instid1(VALU_DEP_1)
	v_fmac_f32_e32 v4, 0x4f800000, v7
	v_rcp_f32_e32 v4, v4
	s_waitcnt_depctr 0xfff
	v_mul_f32_e32 v4, 0x5f7ffffc, v4
	s_delay_alu instid0(VALU_DEP_1) | instskip(NEXT) | instid1(VALU_DEP_1)
	v_mul_f32_e32 v7, 0x2f800000, v4
	v_trunc_f32_e32 v7, v7
	s_delay_alu instid0(VALU_DEP_1) | instskip(SKIP_1) | instid1(VALU_DEP_2)
	v_fmac_f32_e32 v4, 0xcf800000, v7
	v_cvt_u32_f32_e32 v7, v7
	v_cvt_u32_f32_e32 v4, v4
	s_delay_alu instid0(VALU_DEP_2) | instskip(NEXT) | instid1(VALU_DEP_2)
	v_mul_lo_u32 v10, s2, v7
	v_mul_hi_u32 v11, s2, v4
	v_mul_lo_u32 v12, s26, v4
	s_delay_alu instid0(VALU_DEP_2) | instskip(SKIP_1) | instid1(VALU_DEP_2)
	v_add_nc_u32_e32 v10, v11, v10
	v_mul_lo_u32 v11, s2, v4
	v_add_nc_u32_e32 v10, v10, v12
	s_delay_alu instid0(VALU_DEP_2) | instskip(NEXT) | instid1(VALU_DEP_2)
	v_mul_hi_u32 v12, v4, v11
	v_mul_lo_u32 v13, v4, v10
	v_mul_hi_u32 v14, v4, v10
	v_mul_hi_u32 v15, v7, v11
	v_mul_lo_u32 v11, v7, v11
	v_mul_hi_u32 v16, v7, v10
	v_mul_lo_u32 v10, v7, v10
	v_add_co_u32 v12, vcc_lo, v12, v13
	v_add_co_ci_u32_e32 v13, vcc_lo, 0, v14, vcc_lo
	s_delay_alu instid0(VALU_DEP_2) | instskip(NEXT) | instid1(VALU_DEP_2)
	v_add_co_u32 v11, vcc_lo, v12, v11
	v_add_co_ci_u32_e32 v11, vcc_lo, v13, v15, vcc_lo
	v_add_co_ci_u32_e32 v12, vcc_lo, 0, v16, vcc_lo
	s_delay_alu instid0(VALU_DEP_2) | instskip(NEXT) | instid1(VALU_DEP_2)
	v_add_co_u32 v10, vcc_lo, v11, v10
	v_add_co_ci_u32_e32 v11, vcc_lo, 0, v12, vcc_lo
	s_delay_alu instid0(VALU_DEP_2) | instskip(NEXT) | instid1(VALU_DEP_2)
	v_add_co_u32 v4, vcc_lo, v4, v10
	v_add_co_ci_u32_e32 v7, vcc_lo, v7, v11, vcc_lo
	s_delay_alu instid0(VALU_DEP_2) | instskip(SKIP_1) | instid1(VALU_DEP_3)
	v_mul_hi_u32 v10, s2, v4
	v_mul_lo_u32 v12, s26, v4
	v_mul_lo_u32 v11, s2, v7
	s_delay_alu instid0(VALU_DEP_1) | instskip(SKIP_1) | instid1(VALU_DEP_2)
	v_add_nc_u32_e32 v10, v10, v11
	v_mul_lo_u32 v11, s2, v4
	v_add_nc_u32_e32 v10, v10, v12
	s_delay_alu instid0(VALU_DEP_2) | instskip(NEXT) | instid1(VALU_DEP_2)
	v_mul_hi_u32 v12, v4, v11
	v_mul_lo_u32 v13, v4, v10
	v_mul_hi_u32 v14, v4, v10
	v_mul_hi_u32 v15, v7, v11
	v_mul_lo_u32 v11, v7, v11
	v_mul_hi_u32 v16, v7, v10
	v_mul_lo_u32 v10, v7, v10
	v_add_co_u32 v12, vcc_lo, v12, v13
	v_add_co_ci_u32_e32 v13, vcc_lo, 0, v14, vcc_lo
	s_delay_alu instid0(VALU_DEP_2) | instskip(NEXT) | instid1(VALU_DEP_2)
	v_add_co_u32 v11, vcc_lo, v12, v11
	v_add_co_ci_u32_e32 v11, vcc_lo, v13, v15, vcc_lo
	v_add_co_ci_u32_e32 v12, vcc_lo, 0, v16, vcc_lo
	s_delay_alu instid0(VALU_DEP_2) | instskip(NEXT) | instid1(VALU_DEP_2)
	v_add_co_u32 v10, vcc_lo, v11, v10
	v_add_co_ci_u32_e32 v11, vcc_lo, 0, v12, vcc_lo
	s_delay_alu instid0(VALU_DEP_2) | instskip(NEXT) | instid1(VALU_DEP_2)
	v_add_co_u32 v4, vcc_lo, v4, v10
	v_add_co_ci_u32_e32 v7, vcc_lo, v7, v11, vcc_lo
	s_delay_alu instid0(VALU_DEP_2) | instskip(SKIP_1) | instid1(VALU_DEP_3)
	v_mul_hi_u32 v16, v5, v4
	v_mad_u64_u32 v[12:13], null, v6, v4, 0
	v_mad_u64_u32 v[10:11], null, v5, v7, 0
	;; [unrolled: 1-line block ×3, first 2 shown]
	s_delay_alu instid0(VALU_DEP_2) | instskip(NEXT) | instid1(VALU_DEP_3)
	v_add_co_u32 v4, vcc_lo, v16, v10
	v_add_co_ci_u32_e32 v7, vcc_lo, 0, v11, vcc_lo
	s_delay_alu instid0(VALU_DEP_2) | instskip(NEXT) | instid1(VALU_DEP_2)
	v_add_co_u32 v4, vcc_lo, v4, v12
	v_add_co_ci_u32_e32 v4, vcc_lo, v7, v13, vcc_lo
	v_add_co_ci_u32_e32 v7, vcc_lo, 0, v15, vcc_lo
	s_delay_alu instid0(VALU_DEP_2) | instskip(NEXT) | instid1(VALU_DEP_2)
	v_add_co_u32 v4, vcc_lo, v4, v14
	v_add_co_ci_u32_e32 v7, vcc_lo, 0, v7, vcc_lo
	s_delay_alu instid0(VALU_DEP_2) | instskip(SKIP_1) | instid1(VALU_DEP_3)
	v_mul_lo_u32 v12, s25, v4
	v_mad_u64_u32 v[10:11], null, s24, v4, 0
	v_mul_lo_u32 v13, s24, v7
	s_delay_alu instid0(VALU_DEP_2) | instskip(NEXT) | instid1(VALU_DEP_2)
	v_sub_co_u32 v10, vcc_lo, v5, v10
	v_add3_u32 v11, v11, v13, v12
	s_delay_alu instid0(VALU_DEP_1) | instskip(NEXT) | instid1(VALU_DEP_1)
	v_sub_nc_u32_e32 v12, v6, v11
	v_subrev_co_ci_u32_e64 v12, s2, s25, v12, vcc_lo
	v_add_co_u32 v13, s2, v4, 2
	s_delay_alu instid0(VALU_DEP_1) | instskip(SKIP_3) | instid1(VALU_DEP_3)
	v_add_co_ci_u32_e64 v14, s2, 0, v7, s2
	v_sub_co_u32 v15, s2, v10, s24
	v_sub_co_ci_u32_e32 v11, vcc_lo, v6, v11, vcc_lo
	v_subrev_co_ci_u32_e64 v12, s2, 0, v12, s2
	v_cmp_le_u32_e32 vcc_lo, s24, v15
	s_delay_alu instid0(VALU_DEP_3) | instskip(SKIP_1) | instid1(VALU_DEP_4)
	v_cmp_eq_u32_e64 s2, s25, v11
	v_cndmask_b32_e64 v15, 0, -1, vcc_lo
	v_cmp_le_u32_e32 vcc_lo, s25, v12
	v_cndmask_b32_e64 v16, 0, -1, vcc_lo
	v_cmp_le_u32_e32 vcc_lo, s24, v10
	;; [unrolled: 2-line block ×3, first 2 shown]
	v_cndmask_b32_e64 v17, 0, -1, vcc_lo
	v_cmp_eq_u32_e32 vcc_lo, s25, v12
	s_delay_alu instid0(VALU_DEP_2) | instskip(SKIP_3) | instid1(VALU_DEP_3)
	v_cndmask_b32_e64 v10, v17, v10, s2
	v_cndmask_b32_e32 v12, v16, v15, vcc_lo
	v_add_co_u32 v15, vcc_lo, v4, 1
	v_add_co_ci_u32_e32 v16, vcc_lo, 0, v7, vcc_lo
	v_cmp_ne_u32_e32 vcc_lo, 0, v12
	s_delay_alu instid0(VALU_DEP_2) | instskip(SKIP_1) | instid1(VALU_DEP_2)
	v_dual_cndmask_b32 v11, v16, v14 :: v_dual_cndmask_b32 v12, v15, v13
	v_cmp_ne_u32_e32 vcc_lo, 0, v10
	v_dual_cndmask_b32 v11, v7, v11 :: v_dual_cndmask_b32 v10, v4, v12
.LBB0_4:                                ;   in Loop: Header=BB0_2 Depth=1
	s_and_not1_saveexec_b32 s2, s3
	s_cbranch_execz .LBB0_6
; %bb.5:                                ;   in Loop: Header=BB0_2 Depth=1
	v_cvt_f32_u32_e32 v4, s24
	s_sub_i32 s3, 0, s24
	s_delay_alu instid0(VALU_DEP_1) | instskip(SKIP_2) | instid1(VALU_DEP_1)
	v_rcp_iflag_f32_e32 v4, v4
	s_waitcnt_depctr 0xfff
	v_mul_f32_e32 v4, 0x4f7ffffe, v4
	v_cvt_u32_f32_e32 v4, v4
	s_delay_alu instid0(VALU_DEP_1) | instskip(NEXT) | instid1(VALU_DEP_1)
	v_mul_lo_u32 v7, s3, v4
	v_mul_hi_u32 v7, v4, v7
	s_delay_alu instid0(VALU_DEP_1) | instskip(NEXT) | instid1(VALU_DEP_1)
	v_add_nc_u32_e32 v4, v4, v7
	v_mul_hi_u32 v4, v5, v4
	s_delay_alu instid0(VALU_DEP_1) | instskip(SKIP_1) | instid1(VALU_DEP_2)
	v_mul_lo_u32 v7, v4, s24
	v_add_nc_u32_e32 v10, 1, v4
	v_sub_nc_u32_e32 v7, v5, v7
	s_delay_alu instid0(VALU_DEP_1) | instskip(SKIP_1) | instid1(VALU_DEP_2)
	v_subrev_nc_u32_e32 v11, s24, v7
	v_cmp_le_u32_e32 vcc_lo, s24, v7
	v_cndmask_b32_e32 v7, v7, v11, vcc_lo
	v_dual_mov_b32 v11, v3 :: v_dual_cndmask_b32 v4, v4, v10
	s_delay_alu instid0(VALU_DEP_2) | instskip(NEXT) | instid1(VALU_DEP_2)
	v_cmp_le_u32_e32 vcc_lo, s24, v7
	v_add_nc_u32_e32 v10, 1, v4
	s_delay_alu instid0(VALU_DEP_1)
	v_cndmask_b32_e32 v10, v4, v10, vcc_lo
.LBB0_6:                                ;   in Loop: Header=BB0_2 Depth=1
	s_or_b32 exec_lo, exec_lo, s2
	s_delay_alu instid0(VALU_DEP_1) | instskip(NEXT) | instid1(VALU_DEP_2)
	v_mul_lo_u32 v4, v11, s24
	v_mul_lo_u32 v7, v10, s25
	s_load_b64 s[2:3], s[14:15], 0x0
	v_mad_u64_u32 v[12:13], null, v10, s24, 0
	s_load_b64 s[24:25], s[12:13], 0x0
	s_add_u32 s22, s22, 1
	s_addc_u32 s23, s23, 0
	s_add_u32 s12, s12, 8
	s_addc_u32 s13, s13, 0
	s_add_u32 s14, s14, 8
	s_delay_alu instid0(VALU_DEP_1) | instskip(SKIP_3) | instid1(VALU_DEP_2)
	v_add3_u32 v4, v13, v7, v4
	v_sub_co_u32 v12, vcc_lo, v5, v12
	s_addc_u32 s15, s15, 0
	s_add_u32 s20, s20, 8
	v_sub_co_ci_u32_e32 v6, vcc_lo, v6, v4, vcc_lo
	s_addc_u32 s21, s21, 0
	s_waitcnt lgkmcnt(0)
	s_delay_alu instid0(VALU_DEP_1)
	v_mul_lo_u32 v13, s2, v6
	v_mul_lo_u32 v14, s3, v12
	v_mad_u64_u32 v[4:5], null, s2, v12, v[1:2]
	v_mul_lo_u32 v15, s24, v6
	v_mul_lo_u32 v16, s25, v12
	v_mad_u64_u32 v[6:7], null, s24, v12, v[8:9]
	v_cmp_ge_u64_e64 s2, s[22:23], s[6:7]
	v_add3_u32 v2, v14, v5, v13
	s_delay_alu instid0(VALU_DEP_3) | instskip(NEXT) | instid1(VALU_DEP_4)
	v_dual_mov_b32 v1, v4 :: v_dual_mov_b32 v8, v6
	v_add3_u32 v9, v16, v7, v15
	s_delay_alu instid0(VALU_DEP_4)
	s_and_b32 vcc_lo, exec_lo, s2
	s_cbranch_vccnz .LBB0_9
; %bb.7:                                ;   in Loop: Header=BB0_2 Depth=1
	v_dual_mov_b32 v5, v10 :: v_dual_mov_b32 v6, v11
	s_branch .LBB0_2
.LBB0_8:
	v_dual_mov_b32 v9, v2 :: v_dual_mov_b32 v8, v1
	v_dual_mov_b32 v11, v6 :: v_dual_mov_b32 v10, v5
.LBB0_9:
	s_load_b64 s[0:1], s[0:1], 0x28
	v_mul_hi_u32 v26, 0x4924925, v0
	s_lshl_b64 s[6:7], s[6:7], 3
                                        ; implicit-def: $sgpr12_sgpr13
                                        ; implicit-def: $vgpr44
                                        ; implicit-def: $vgpr7
	s_delay_alu instid0(SALU_CYCLE_1) | instskip(SKIP_4) | instid1(VALU_DEP_1)
	s_add_u32 s2, s18, s6
	s_addc_u32 s3, s19, s7
	s_waitcnt lgkmcnt(0)
	v_cmp_gt_u64_e32 vcc_lo, s[0:1], v[10:11]
	v_cmp_le_u64_e64 s0, s[0:1], v[10:11]
	s_and_saveexec_b32 s1, s0
	s_delay_alu instid0(SALU_CYCLE_1)
	s_xor_b32 s0, exec_lo, s1
; %bb.10:
	v_mul_u32_u24_e32 v1, 56, v26
	s_mov_b64 s[12:13], 0
                                        ; implicit-def: $vgpr26
	s_delay_alu instid0(VALU_DEP_1) | instskip(NEXT) | instid1(VALU_DEP_1)
	v_sub_nc_u32_e32 v44, v0, v1
                                        ; implicit-def: $vgpr0
                                        ; implicit-def: $vgpr1_vgpr2
	v_or_b32_e32 v7, 0x1c0, v44
; %bb.11:
	s_or_saveexec_b32 s1, s0
	v_dual_mov_b32 v15, s13 :: v_dual_mov_b32 v14, s12
	v_dual_mov_b32 v23, s13 :: v_dual_mov_b32 v22, s12
	v_dual_mov_b32 v25, s13 :: v_dual_mov_b32 v24, s12
	v_dual_mov_b32 v21, s13 :: v_dual_mov_b32 v20, s12
	v_dual_mov_b32 v19, s13 :: v_dual_mov_b32 v18, s12
	v_dual_mov_b32 v17, s13 :: v_dual_mov_b32 v16, s12
	v_dual_mov_b32 v5, s12 :: v_dual_mov_b32 v6, s13
	v_dual_mov_b32 v12, s12 :: v_dual_mov_b32 v13, s13
	v_dual_mov_b32 v3, s12 :: v_dual_mov_b32 v4, s13
                                        ; implicit-def: $vgpr43
                                        ; implicit-def: $vgpr37
                                        ; implicit-def: $vgpr35
                                        ; implicit-def: $vgpr31
                                        ; implicit-def: $vgpr33
                                        ; implicit-def: $vgpr27
                                        ; implicit-def: $vgpr29
                                        ; implicit-def: $vgpr39
                                        ; implicit-def: $vgpr41
	s_xor_b32 exec_lo, exec_lo, s1
	s_cbranch_execz .LBB0_13
; %bb.12:
	s_add_u32 s6, s16, s6
	s_addc_u32 s7, s17, s7
	v_lshlrev_b64 v[1:2], 3, v[1:2]
	s_load_b64 s[6:7], s[6:7], 0x0
	s_waitcnt lgkmcnt(0)
	v_mul_lo_u32 v5, s7, v10
	v_mul_lo_u32 v6, s6, v11
	v_mad_u64_u32 v[3:4], null, s6, v10, 0
	s_delay_alu instid0(VALU_DEP_1) | instskip(SKIP_1) | instid1(VALU_DEP_2)
	v_add3_u32 v4, v4, v6, v5
	v_mul_u32_u24_e32 v5, 56, v26
	v_lshlrev_b64 v[3:4], 3, v[3:4]
	s_delay_alu instid0(VALU_DEP_2) | instskip(NEXT) | instid1(VALU_DEP_1)
	v_sub_nc_u32_e32 v44, v0, v5
	v_or_b32_e32 v7, 0x1c0, v44
	s_delay_alu instid0(VALU_DEP_3) | instskip(NEXT) | instid1(VALU_DEP_1)
	v_add_co_u32 v0, s0, s8, v3
	v_add_co_ci_u32_e64 v3, s0, s9, v4, s0
	v_lshlrev_b32_e32 v4, 3, v44
	s_delay_alu instid0(VALU_DEP_3) | instskip(NEXT) | instid1(VALU_DEP_1)
	v_add_co_u32 v5, s0, v0, v1
	v_add_co_ci_u32_e64 v2, s0, v3, v2, s0
	s_delay_alu instid0(VALU_DEP_3) | instskip(NEXT) | instid1(VALU_DEP_3)
	v_or_b32_e32 v3, 0x1c00, v4
	v_add_co_u32 v0, s0, v5, v4
	s_delay_alu instid0(VALU_DEP_1) | instskip(NEXT) | instid1(VALU_DEP_3)
	v_add_co_ci_u32_e64 v1, s0, 0, v2, s0
	v_add_co_u32 v26, s0, v5, v3
	s_delay_alu instid0(VALU_DEP_1) | instskip(NEXT) | instid1(VALU_DEP_4)
	v_add_co_ci_u32_e64 v27, s0, 0, v2, s0
	v_add_co_u32 v45, s0, 0x1000, v0
	s_delay_alu instid0(VALU_DEP_1)
	v_add_co_ci_u32_e64 v46, s0, 0, v1, s0
	s_clause 0x11
	global_load_b64 v[14:15], v[0:1], off
	global_load_b64 v[22:23], v[0:1], off offset:448
	global_load_b64 v[24:25], v[0:1], off offset:896
	;; [unrolled: 1-line block ×15, first 2 shown]
	global_load_b64 v[32:33], v[26:27], off
	global_load_b64 v[26:27], v[45:46], off offset:3520
.LBB0_13:
	s_or_b32 exec_lo, exec_lo, s1
	s_waitcnt vmcnt(3)
	v_dual_sub_f32 v1, v14, v42 :: v_dual_sub_f32 v50, v15, v43
	v_dual_sub_f32 v52, v24, v38 :: v_dual_sub_f32 v31, v17, v31
	v_sub_f32_e32 v40, v22, v40
	v_dual_sub_f32 v38, v20, v36 :: v_dual_sub_f32 v29, v6, v29
	s_delay_alu instid0(VALU_DEP_4)
	v_fma_f32 v49, v15, 2.0, -v50
	v_sub_f32_e32 v15, v23, v41
	v_fma_f32 v51, v24, 2.0, -v52
	s_waitcnt vmcnt(1)
	v_dual_sub_f32 v24, v18, v34 :: v_dual_sub_f32 v33, v13, v33
	v_sub_f32_e32 v54, v25, v39
	s_waitcnt vmcnt(0)
	v_dual_sub_f32 v26, v3, v26 :: v_dual_add_nc_u32 v43, 0xe0, v44
	v_add_nc_u32_e32 v46, 56, v44
	v_fma_f32 v39, v22, 2.0, -v40
	v_sub_f32_e32 v22, v21, v37
	v_fma_f32 v37, v20, 2.0, -v38
	v_dual_sub_f32 v20, v19, v35 :: v_dual_add_nc_u32 v45, 0x70, v44
	v_add_nc_u32_e32 v48, 0xa8, v44
	v_lshl_add_u32 v47, v44, 2, 0
	v_sub_f32_e32 v56, v12, v32
	v_fma_f32 v0, v14, 2.0, -v1
	v_fma_f32 v14, v23, 2.0, -v15
	v_fma_f32 v23, v18, 2.0, -v24
	v_sub_f32_e32 v18, v5, v28
	v_lshl_add_u32 v2, v44, 3, 0
	v_sub_f32_e32 v35, v16, v30
	v_fma_f32 v53, v25, 2.0, -v54
	v_fma_f32 v25, v3, 2.0, -v26
	v_lshl_add_u32 v3, v46, 3, 0
	v_fma_f32 v28, v6, 2.0, -v29
	v_lshl_add_u32 v6, v45, 3, 0
	;; [unrolled: 2-line block ×3, first 2 shown]
	v_add_nc_u32_e32 v41, 0x118, v44
	s_load_b64 s[2:3], s[2:3], 0x0
	v_fma_f32 v30, v17, 2.0, -v31
	ds_store_b64 v2, v[0:1]
	ds_store_b64 v3, v[39:40]
	;; [unrolled: 1-line block ×4, first 2 shown]
	v_add_nc_u32_e32 v37, 0x600, v47
	v_fma_f32 v17, v5, 2.0, -v18
	v_sub_f32_e32 v5, v4, v27
	v_add_nc_u32_e32 v27, 0x150, v44
	v_add_nc_u32_e32 v61, 0x188, v44
	v_lshl_add_u32 v64, v7, 3, 0
	v_lshlrev_b32_e32 v0, 2, v7
	v_lshl_add_u32 v1, v43, 3, 0
	v_add_nc_u32_e32 v39, 0x200, v47
	v_fma_f32 v34, v16, 2.0, -v35
	v_fma_f32 v32, v13, 2.0, -v33
	v_lshl_add_u32 v13, v41, 3, 0
	v_add_nc_u32_e32 v40, 0xa00, v47
	v_lshl_add_u32 v62, v27, 3, 0
	v_add_nc_u32_e32 v36, 0x400, v47
	v_fma_f32 v21, v21, 2.0, -v22
	v_lshl_add_u32 v63, v61, 3, 0
	v_add_nc_u32_e32 v38, 0x800, v47
	v_add_nc_u32_e32 v42, 0xc00, v47
	v_sub_nc_u32_e32 v0, v64, v0
	v_fma_f32 v19, v19, 2.0, -v20
	ds_store_b64 v1, v[23:24]
	ds_store_b64 v13, v[34:35]
	ds_store_b64 v62, v[17:18]
	ds_store_b64 v63, v[55:56]
	ds_store_b64 v64, v[25:26]
	s_waitcnt lgkmcnt(0)
	s_barrier
	buffer_gl0_inv
	ds_load_2addr_b32 v[16:17], v47 offset1:56
	ds_load_2addr_b32 v[23:24], v37 offset0:120 offset1:176
	ds_load_2addr_b32 v[25:26], v47 offset0:112 offset1:168
	;; [unrolled: 1-line block ×7, first 2 shown]
	ds_load_b32 v65, v0
	ds_load_b32 v66, v47 offset:3808
	s_waitcnt lgkmcnt(0)
	s_barrier
	buffer_gl0_inv
	ds_store_b64 v2, v[49:50]
	ds_store_b64 v3, v[14:15]
	;; [unrolled: 1-line block ×4, first 2 shown]
	v_and_b32_e32 v22, 1, v44
	v_fma_f32 v4, v4, 2.0, -v5
	ds_store_b64 v1, v[19:20]
	ds_store_b64 v13, v[30:31]
	;; [unrolled: 1-line block ×4, first 2 shown]
	v_lshlrev_b32_e32 v13, 1, v7
	v_cmp_gt_u32_e64 s0, 48, v44
	v_lshlrev_b32_e32 v1, 3, v22
	ds_store_b64 v64, v[4:5]
	s_waitcnt lgkmcnt(0)
	s_barrier
	buffer_gl0_inv
	global_load_b64 v[14:15], v1, s[4:5]
	v_lshlrev_b32_e32 v7, 1, v61
	v_lshlrev_b32_e32 v12, 1, v44
	s_waitcnt vmcnt(0)
	v_dual_mul_f32 v85, v55, v15 :: v_dual_lshlrev_b32 v2, 1, v45
	v_mul_f32_e32 v89, v59, v15
	v_lshlrev_b32_e32 v6, 1, v27
	ds_load_2addr_b32 v[18:19], v47 offset1:56
	ds_load_2addr_b32 v[20:21], v37 offset0:120 offset1:176
	ds_load_2addr_b32 v[27:28], v47 offset0:112 offset1:168
	;; [unrolled: 1-line block ×7, first 2 shown]
	ds_load_b32 v68, v0
	ds_load_b32 v69, v47 offset:3808
	v_lshlrev_b32_e32 v5, 1, v41
	v_mul_f32_e32 v77, v23, v15
	v_lshlrev_b32_e32 v1, 1, v46
	v_mul_f32_e32 v79, v24, v15
	;; [unrolled: 2-line block ×4, first 2 shown]
	v_and_or_b32 v64, 0x3fc, v13, v22
	v_and_or_b32 v71, 0x1fc, v2, v22
	v_mul_f32_e32 v83, v35, v15
	v_and_or_b32 v63, 0x7c, v12, v22
	s_waitcnt lgkmcnt(8)
	v_mul_f32_e32 v78, v21, v15
	s_waitcnt lgkmcnt(6)
	v_mul_f32_e32 v80, v29, v15
	v_mul_f32_e32 v82, v30, v15
	s_waitcnt lgkmcnt(4)
	v_fmac_f32_e32 v87, v50, v14
	v_and_or_b32 v73, 0x3fc, v4, v22
	v_mul_f32_e32 v86, v50, v15
	v_and_or_b32 v70, 0xfc, v1, v22
	s_waitcnt lgkmcnt(2)
	v_mul_f32_e32 v88, v61, v15
	v_and_or_b32 v72, 0x1fc, v3, v22
	v_mul_f32_e32 v90, v62, v15
	v_and_or_b32 v74, 0x2fc, v5, v22
	s_waitcnt lgkmcnt(0)
	v_mul_f32_e32 v92, v69, v15
	v_fmac_f32_e32 v89, v61, v14
	v_and_or_b32 v75, 0x3fc, v6, v22
	v_and_or_b32 v22, 0x3fc, v7, v22
	v_dual_mul_f32 v84, v49, v15 :: v_dual_and_b32 v33, 3, v44
	v_mul_f32_e32 v91, v60, v15
	v_fmac_f32_e32 v77, v20, v14
	s_delay_alu instid0(VALU_DEP_4)
	v_lshl_add_u32 v76, v22, 2, 0
	v_mul_f32_e32 v22, v20, v15
	v_mul_f32_e32 v15, v66, v15
	v_fmac_f32_e32 v79, v21, v14
	v_fma_f32 v20, v34, v14, -v80
	v_fmac_f32_e32 v81, v29, v14
	v_fma_f32 v22, v23, v14, -v22
	v_fma_f32 v23, v24, v14, -v78
	;; [unrolled: 1-line block ×3, first 2 shown]
	v_fmac_f32_e32 v83, v30, v14
	v_fma_f32 v24, v55, v14, -v84
	v_fmac_f32_e32 v85, v49, v14
	v_fma_f32 v29, v56, v14, -v86
	v_fma_f32 v30, v59, v14, -v88
	;; [unrolled: 1-line block ×4, first 2 shown]
	v_dual_fmac_f32 v91, v62, v14 :: v_dual_sub_f32 v50, v19, v79
	v_dual_fmac_f32 v15, v69, v14 :: v_dual_sub_f32 v56, v28, v83
	v_dual_sub_f32 v14, v16, v22 :: v_dual_sub_f32 v49, v18, v77
	v_dual_sub_f32 v60, v32, v87 :: v_dual_lshlrev_b32 v67, 3, v33
	v_sub_f32_e32 v22, v17, v23
	v_dual_sub_f32 v20, v25, v20 :: v_dual_sub_f32 v55, v27, v81
	v_sub_f32_e32 v34, v58, v34
	v_dual_sub_f32 v21, v26, v21 :: v_dual_sub_f32 v62, v68, v15
	v_sub_f32_e32 v23, v51, v24
	v_sub_f32_e32 v59, v31, v85
	v_dual_sub_f32 v24, v52, v29 :: v_dual_sub_f32 v29, v57, v30
	v_sub_f32_e32 v35, v65, v35
	v_lshl_add_u32 v63, v63, 2, 0
	v_dual_sub_f32 v30, v53, v89 :: v_dual_sub_f32 v61, v54, v91
	v_fma_f32 v15, v16, 2.0, -v14
	v_fma_f32 v66, v18, 2.0, -v49
	v_lshl_add_u32 v70, v70, 2, 0
	v_fma_f32 v16, v17, 2.0, -v22
	v_fma_f32 v69, v19, 2.0, -v50
	v_lshl_add_u32 v71, v71, 2, 0
	;; [unrolled: 3-line block ×4, first 2 shown]
	v_fma_f32 v19, v51, 2.0, -v23
	v_fma_f32 v31, v31, 2.0, -v59
	;; [unrolled: 1-line block ×6, first 2 shown]
	s_barrier
	buffer_gl0_inv
	v_lshl_add_u32 v64, v64, 2, 0
	v_lshl_add_u32 v74, v74, 2, 0
	v_lshl_add_u32 v75, v75, 2, 0
	v_fma_f32 v32, v32, 2.0, -v60
	v_fma_f32 v51, v53, 2.0, -v30
	;; [unrolled: 1-line block ×4, first 2 shown]
	ds_store_2addr_b32 v63, v15, v14 offset1:2
	ds_store_2addr_b32 v70, v16, v22 offset1:2
	;; [unrolled: 1-line block ×9, first 2 shown]
	s_waitcnt lgkmcnt(0)
	s_barrier
	buffer_gl0_inv
	ds_load_2addr_b32 v[14:15], v47 offset1:56
	ds_load_2addr_b32 v[16:17], v37 offset0:120 offset1:176
	ds_load_2addr_b32 v[18:19], v47 offset0:112 offset1:168
	;; [unrolled: 1-line block ×7, first 2 shown]
	ds_load_b32 v65, v0
	ds_load_b32 v68, v47 offset:3808
	s_waitcnt lgkmcnt(0)
	s_barrier
	buffer_gl0_inv
	ds_store_2addr_b32 v63, v66, v49 offset1:2
	ds_store_2addr_b32 v70, v69, v50 offset1:2
	;; [unrolled: 1-line block ×9, first 2 shown]
	s_waitcnt lgkmcnt(0)
	s_barrier
	buffer_gl0_inv
	global_load_b64 v[30:31], v67, s[4:5] offset:16
	v_and_or_b32 v34, 0x3f8, v13, v33
	v_and_or_b32 v35, 0xf8, v1, v33
	;; [unrolled: 1-line block ×9, first 2 shown]
	v_lshl_add_u32 v64, v34, 2, 0
	v_lshl_add_u32 v66, v35, 2, 0
	ds_load_2addr_b32 v[34:35], v38 offset0:104 offset1:160
	v_lshl_add_u32 v63, v32, 2, 0
	ds_load_2addr_b32 v[32:33], v37 offset0:120 offset1:176
	v_lshl_add_u32 v67, v49, 2, 0
	v_lshl_add_u32 v69, v50, 2, 0
	;; [unrolled: 1-line block ×5, first 2 shown]
	ds_load_2addr_b32 v[49:50], v40 offset0:88 offset1:144
	v_lshl_add_u32 v73, v54, 2, 0
	ds_load_2addr_b32 v[51:52], v47 offset1:56
	ds_load_2addr_b32 v[53:54], v47 offset0:112 offset1:168
	ds_load_2addr_b32 v[55:56], v42 offset0:72 offset1:128
	;; [unrolled: 1-line block ×4, first 2 shown]
	ds_load_b32 v74, v0
	ds_load_b32 v75, v47 offset:3808
	v_and_b32_e32 v61, 7, v44
	s_waitcnt vmcnt(0) lgkmcnt(0)
	s_barrier
	buffer_gl0_inv
	v_mul_f32_e32 v82, v35, v31
	v_mul_f32_e32 v80, v34, v31
	;; [unrolled: 1-line block ×7, first 2 shown]
	v_fma_f32 v28, v28, v30, -v88
	v_mul_f32_e32 v81, v20, v31
	v_fma_f32 v20, v20, v30, -v80
	v_mul_f32_e32 v77, v16, v31
	v_dual_mul_f32 v90, v56, v31 :: v_dual_fmac_f32 v83, v35, v30
	v_sub_f32_e32 v28, v26, v28
	s_delay_alu instid0(VALU_DEP_4) | instskip(NEXT) | instid1(VALU_DEP_4)
	v_sub_f32_e32 v20, v18, v20
	v_dual_mul_f32 v84, v49, v31 :: v_dual_fmac_f32 v77, v32, v30
	v_fmac_f32_e32 v81, v34, v30
	v_mul_f32_e32 v85, v24, v31
	v_mul_f32_e32 v87, v25, v31
	s_delay_alu instid0(VALU_DEP_4) | instskip(SKIP_3) | instid1(VALU_DEP_4)
	v_fma_f32 v24, v24, v30, -v84
	v_mul_f32_e32 v79, v17, v31
	v_sub_f32_e32 v34, v53, v81
	v_dual_mul_f32 v92, v75, v31 :: v_dual_fmac_f32 v85, v49, v30
	v_sub_f32_e32 v24, v22, v24
	s_delay_alu instid0(VALU_DEP_4)
	v_dual_mul_f32 v86, v50, v31 :: v_dual_fmac_f32 v79, v33, v30
	v_mul_f32_e32 v91, v29, v31
	v_mul_f32_e32 v31, v68, v31
	v_fma_f32 v16, v16, v30, -v76
	v_fma_f32 v17, v17, v30, -v78
	v_fma_f32 v21, v21, v30, -v82
	v_fma_f32 v25, v25, v30, -v86
	v_fma_f32 v29, v29, v30, -v90
	v_fma_f32 v32, v68, v30, -v92
	v_dual_fmac_f32 v31, v75, v30 :: v_dual_sub_f32 v16, v14, v16
	v_sub_f32_e32 v17, v15, v17
	v_sub_f32_e32 v21, v19, v21
	;; [unrolled: 1-line block ×3, first 2 shown]
	v_dual_sub_f32 v29, v27, v29 :: v_dual_sub_f32 v32, v65, v32
	v_sub_f32_e32 v31, v74, v31
	v_fma_f32 v14, v14, 2.0, -v16
	v_fma_f32 v15, v15, 2.0, -v17
	;; [unrolled: 1-line block ×10, first 2 shown]
	ds_store_2addr_b32 v63, v14, v16 offset1:4
	ds_store_2addr_b32 v66, v15, v17 offset1:4
	;; [unrolled: 1-line block ×9, first 2 shown]
	s_waitcnt lgkmcnt(0)
	s_barrier
	buffer_gl0_inv
	ds_load_2addr_b32 v[14:15], v47 offset1:56
	ds_load_2addr_b32 v[16:17], v37 offset0:120 offset1:176
	ds_load_2addr_b32 v[18:19], v47 offset0:112 offset1:168
	;; [unrolled: 1-line block ×7, first 2 shown]
	ds_load_b32 v65, v0
	ds_load_b32 v74, v47 offset:3808
	v_fmac_f32_e32 v91, v56, v30
	v_fmac_f32_e32 v87, v50, v30
	v_sub_f32_e32 v33, v52, v79
	v_sub_f32_e32 v35, v54, v83
	s_delay_alu instid0(VALU_DEP_4) | instskip(NEXT) | instid1(VALU_DEP_4)
	v_dual_sub_f32 v49, v57, v85 :: v_dual_sub_f32 v56, v60, v91
	v_dual_fmac_f32 v89, v55, v30 :: v_dual_sub_f32 v50, v58, v87
	v_sub_f32_e32 v30, v51, v77
	v_lshlrev_b32_e32 v62, 3, v61
	v_fma_f32 v52, v52, 2.0, -v33
	s_delay_alu instid0(VALU_DEP_4)
	v_sub_f32_e32 v55, v59, v89
	v_fma_f32 v53, v53, 2.0, -v34
	v_fma_f32 v51, v51, 2.0, -v30
	;; [unrolled: 1-line block ×7, first 2 shown]
	s_waitcnt lgkmcnt(0)
	s_barrier
	buffer_gl0_inv
	ds_store_2addr_b32 v63, v51, v30 offset1:4
	ds_store_2addr_b32 v66, v52, v33 offset1:4
	;; [unrolled: 1-line block ×9, first 2 shown]
	s_waitcnt lgkmcnt(0)
	s_barrier
	buffer_gl0_inv
	global_load_b64 v[30:31], v62, s[4:5] offset:48
	v_and_or_b32 v12, 0x70, v12, v61
	v_and_or_b32 v5, 0x2f0, v5, v61
	;; [unrolled: 1-line block ×5, first 2 shown]
	v_lshl_add_u32 v57, v12, 2, 0
	v_and_or_b32 v12, 0xf0, v1, v61
	v_and_or_b32 v3, 0x1f0, v3, v61
	;; [unrolled: 1-line block ×3, first 2 shown]
	v_lshl_add_u32 v66, v5, 2, 0
	v_lshl_add_u32 v67, v6, 2, 0
	ds_load_2addr_b32 v[5:6], v40 offset0:88 offset1:144
	v_and_or_b32 v7, 0x3f0, v7, v61
	v_lshl_add_u32 v58, v13, 2, 0
	ds_load_2addr_b32 v[1:2], v37 offset0:120 offset1:176
	v_lshl_add_u32 v61, v12, 2, 0
	v_lshl_add_u32 v62, v32, 2, 0
	;; [unrolled: 1-line block ×3, first 2 shown]
	ds_load_2addr_b32 v[3:4], v38 offset0:104 offset1:160
	v_lshl_add_u32 v64, v33, 2, 0
	ds_load_2addr_b32 v[12:13], v47 offset1:56
	ds_load_2addr_b32 v[32:33], v47 offset0:112 offset1:168
	ds_load_2addr_b32 v[34:35], v42 offset0:72 offset1:128
	;; [unrolled: 1-line block ×4, first 2 shown]
	ds_load_b32 v0, v0
	ds_load_b32 v68, v47 offset:3808
	v_and_b32_e32 v49, 15, v44
	v_and_b32_e32 v56, 15, v48
	v_lshl_add_u32 v7, v7, 2, 0
	s_waitcnt vmcnt(0) lgkmcnt(0)
	s_barrier
	buffer_gl0_inv
	v_lshlrev_b32_e32 v60, 4, v56
	v_mul_f32_e32 v84, v35, v31
	v_mul_f32_e32 v81, v25, v31
	;; [unrolled: 1-line block ×8, first 2 shown]
	v_dual_mul_f32 v86, v68, v31 :: v_dual_fmac_f32 v81, v6, v30
	v_fma_f32 v6, v28, v30, -v82
	v_mul_f32_e32 v73, v3, v31
	v_mul_f32_e32 v70, v16, v31
	;; [unrolled: 1-line block ×3, first 2 shown]
	v_fmac_f32_e32 v77, v4, v30
	v_fma_f32 v4, v24, v30, -v78
	v_mul_f32_e32 v69, v1, v31
	v_mul_f32_e32 v71, v2, v31
	v_dual_mul_f32 v83, v28, v31 :: v_dual_fmac_f32 v72, v2, v30
	v_fmac_f32_e32 v85, v35, v30
	v_dual_mul_f32 v75, v20, v31 :: v_dual_sub_f32 v6, v26, v6
	v_fma_f32 v2, v20, v30, -v73
	v_fma_f32 v20, v74, v30, -v86
	v_mul_f32_e32 v79, v24, v31
	v_dual_mul_f32 v31, v74, v31 :: v_dual_fmac_f32 v70, v1, v30
	v_sub_f32_e32 v4, v22, v4
	v_fma_f32 v16, v16, v30, -v69
	v_fma_f32 v1, v17, v30, -v71
	v_dual_fmac_f32 v83, v34, v30 :: v_dual_sub_f32 v34, v13, v72
	v_sub_f32_e32 v72, v55, v85
	v_fmac_f32_e32 v75, v3, v30
	v_dual_sub_f32 v2, v18, v2 :: v_dual_and_b32 v51, 15, v41
	v_fma_f32 v3, v21, v30, -v76
	v_fma_f32 v17, v29, v30, -v84
	v_dual_fmac_f32 v31, v68, v30 :: v_dual_sub_f32 v20, v65, v20
	v_fmac_f32_e32 v79, v5, v30
	v_fma_f32 v5, v25, v30, -v80
	v_sub_f32_e32 v16, v14, v16
	v_dual_sub_f32 v30, v12, v70 :: v_dual_sub_f32 v1, v15, v1
	v_sub_f32_e32 v35, v32, v75
	v_dual_sub_f32 v68, v33, v77 :: v_dual_lshlrev_b32 v59, 4, v51
	v_sub_f32_e32 v3, v19, v3
	v_sub_f32_e32 v69, v52, v79
	;; [unrolled: 1-line block ×4, first 2 shown]
	v_dual_sub_f32 v31, v0, v31 :: v_dual_lshlrev_b32 v50, 4, v49
	v_dual_sub_f32 v70, v53, v81 :: v_dual_sub_f32 v71, v54, v83
	v_fma_f32 v14, v14, 2.0, -v16
	v_fma_f32 v73, v12, 2.0, -v30
	;; [unrolled: 1-line block ×18, first 2 shown]
	ds_store_2addr_b32 v57, v14, v16 offset1:8
	ds_store_2addr_b32 v61, v12, v1 offset1:8
	;; [unrolled: 1-line block ×9, first 2 shown]
	s_waitcnt lgkmcnt(0)
	s_barrier
	buffer_gl0_inv
	ds_load_2addr_b32 v[16:17], v47 offset1:56
	ds_load_2addr_b32 v[28:29], v36 offset0:80 offset1:136
	ds_load_2addr_b32 v[26:27], v38 offset0:160 offset1:216
	;; [unrolled: 1-line block ×8, first 2 shown]
	s_waitcnt lgkmcnt(0)
	s_barrier
	buffer_gl0_inv
	ds_store_2addr_b32 v57, v73, v30 offset1:8
	ds_store_2addr_b32 v61, v74, v34 offset1:8
	ds_store_2addr_b32 v62, v32, v35 offset1:8
	ds_store_2addr_b32 v63, v33, v68 offset1:8
	ds_store_2addr_b32 v64, v52, v69 offset1:8
	ds_store_2addr_b32 v66, v53, v70 offset1:8
	ds_store_2addr_b32 v67, v54, v71 offset1:8
	ds_store_2addr_b32 v7, v55, v72 offset1:8
	ds_store_2addr_b32 v58, v0, v31 offset1:8
	s_waitcnt lgkmcnt(0)
	s_barrier
	buffer_gl0_inv
	s_clause 0x3
	global_load_b128 v[0:3], v50, s[4:5] offset:112
	global_load_b128 v[4:7], v60, s[4:5] offset:112
	global_load_b64 v[30:31], v59, s[4:5] offset:112
	global_load_b64 v[32:33], v59, s[4:5] offset:120
	v_and_b32_e32 v57, 15, v46
	s_clause 0x1
	global_load_b32 v53, v59, s[4:5] offset:124
	global_load_b64 v[34:35], v59, s[4:5] offset:116
	v_subrev_nc_u32_e32 v54, 48, v44
	v_lshrrev_b32_e32 v59, 4, v46
	v_lshrrev_b32_e32 v60, 4, v45
	v_lshlrev_b32_e32 v50, 4, v57
	v_lshrrev_b32_e32 v61, 4, v48
	v_and_b32_e32 v64, 0xff, v46
	v_and_b32_e32 v65, 0xff, v45
	v_mov_b32_e32 v55, 0
	global_load_b32 v52, v50, s[4:5] offset:112
	v_lshrrev_b32_e32 v50, 4, v44
	v_lshrrev_b32_e32 v62, 4, v43
	;; [unrolled: 1-line block ×3, first 2 shown]
	v_mul_u32_u24_e32 v59, 48, v59
	v_mul_u32_u24_e32 v60, 48, v60
	;; [unrolled: 1-line block ×3, first 2 shown]
	v_cndmask_b32_e64 v50, v54, v44, s0
	v_mul_u32_u24_e32 v61, 48, v61
	v_mul_lo_u16 v64, 0xab, v64
	v_mul_lo_u16 v65, 0xab, v65
	v_or_b32_e32 v58, v58, v49
	v_lshlrev_b32_e32 v54, 1, v50
	v_and_b32_e32 v68, 0xffff, v41
	v_mul_u32_u24_e32 v62, 48, v62
	v_mul_u32_u24_e32 v63, 48, v63
	v_lshl_add_u32 v77, v58, 2, 0
	v_or_b32_e32 v59, v59, v57
	v_or_b32_e32 v60, v60, v49
	;; [unrolled: 1-line block ×3, first 2 shown]
	v_lshlrev_b64 v[57:58], 3, v[54:55]
	v_lshrrev_b16 v56, 13, v64
	v_lshrrev_b16 v55, 13, v65
	v_mul_u32_u24_e32 v68, 0xaaab, v68
	v_or_b32_e32 v62, v62, v49
	v_or_b32_e32 v63, v63, v51
	v_lshl_add_u32 v88, v59, 2, 0
	v_lshl_add_u32 v89, v60, 2, 0
	v_mul_lo_u16 v59, v56, 48
	v_mul_lo_u16 v60, v55, 48
	v_lshrrev_b32_e32 v49, 21, v68
	v_lshl_add_u32 v90, v61, 2, 0
	v_lshl_add_u32 v91, v62, 2, 0
	;; [unrolled: 1-line block ×3, first 2 shown]
	v_sub_nc_u16 v63, v46, v59
	v_sub_nc_u16 v68, v45, v60
	ds_load_2addr_b32 v[59:60], v36 offset0:80 offset1:136
	ds_load_2addr_b32 v[61:62], v36 offset0:192 offset1:248
	v_and_b32_e32 v66, 0xff, v48
	v_add_co_u32 v57, s0, s4, v57
	v_and_b32_e32 v96, 0xff, v68
	v_add_co_ci_u32_e64 v58, s0, s5, v58, s0
	s_delay_alu instid0(VALU_DEP_4) | instskip(SKIP_2) | instid1(VALU_DEP_3)
	v_mul_lo_u16 v66, 0xab, v66
	v_mul_lo_u16 v94, v49, 48
	v_cmp_lt_u32_e64 s0, 47, v44
	v_lshrrev_b16 v54, 13, v66
	ds_load_2addr_b32 v[65:66], v38 offset0:160 offset1:216
	s_waitcnt vmcnt(6)
	v_mul_f32_e32 v87, v24, v1
	s_waitcnt vmcnt(4) lgkmcnt(1)
	v_dual_mul_f32 v86, v61, v1 :: v_dual_mul_f32 v81, v60, v31
	v_mul_f32_e32 v31, v29, v31
	v_mul_f32_e32 v99, v22, v3
	v_fmac_f32_e32 v87, v61, v0
	v_mul_f32_e32 v79, v62, v5
	v_mul_f32_e32 v5, v25, v5
	v_fma_f32 v24, v24, v0, -v86
	v_mul_f32_e32 v78, v59, v1
	v_mul_f32_e32 v82, v28, v1
	v_fma_f32 v25, v25, v4, -v79
	v_and_b32_e32 v95, 0xff, v63
	ds_load_2addr_b32 v[63:64], v42 offset0:16 offset1:72
	s_waitcnt vmcnt(0)
	v_fmac_f32_e32 v31, v60, v52
	v_add_f32_e32 v60, v14, v24
	s_waitcnt lgkmcnt(1)
	v_mul_f32_e32 v84, v66, v33
	v_fmac_f32_e32 v82, v59, v0
	s_waitcnt lgkmcnt(0)
	v_mul_f32_e32 v98, v63, v3
	v_dual_mul_f32 v80, v64, v7 :: v_dual_fmac_f32 v99, v63, v2
	s_delay_alu instid0(VALU_DEP_2) | instskip(SKIP_1) | instid1(VALU_DEP_2)
	v_fma_f32 v22, v22, v2, -v98
	v_and_b32_e32 v67, 0xffff, v43
	v_add_f32_e32 v61, v24, v22
	v_sub_f32_e32 v24, v24, v22
	s_delay_alu instid0(VALU_DEP_3) | instskip(SKIP_1) | instid1(VALU_DEP_4)
	v_mul_u32_u24_e32 v67, 0xaaab, v67
	v_add_f32_e32 v22, v60, v22
	v_fma_f32 v14, -0.5, v61, v14
	s_delay_alu instid0(VALU_DEP_3) | instskip(SKIP_1) | instid1(VALU_DEP_2)
	v_lshrrev_b32_e32 v51, 21, v67
	v_mul_lo_u16 v67, v54, 48
	v_mul_lo_u16 v93, v51, 48
	s_delay_alu instid0(VALU_DEP_2)
	v_sub_nc_u16 v48, v48, v67
	ds_load_2addr_b32 v[67:68], v47 offset1:56
	ds_load_2addr_b32 v[69:70], v47 offset0:112 offset1:168
	ds_load_2addr_b32 v[71:72], v38 offset0:48 offset1:104
	;; [unrolled: 1-line block ×4, first 2 shown]
	s_waitcnt lgkmcnt(0)
	s_barrier
	buffer_gl0_inv
	v_add_f32_e32 v59, v68, v31
	v_dual_add_f32 v63, v69, v87 :: v_dual_mul_f32 v100, v71, v1
	v_mul_f32_e32 v1, v20, v1
	v_mul_f32_e32 v102, v72, v34
	v_dual_mul_f32 v34, v21, v34 :: v_dual_mul_f32 v103, v74, v53
	s_delay_alu instid0(VALU_DEP_4) | instskip(SKIP_2) | instid1(VALU_DEP_4)
	v_fma_f32 v20, v20, v0, -v100
	v_mul_f32_e32 v7, v23, v7
	v_fmac_f32_e32 v1, v71, v0
	v_dual_mul_f32 v33, v27, v33 :: v_dual_fmac_f32 v34, v72, v30
	v_fma_f32 v27, v27, v35, -v84
	s_delay_alu instid0(VALU_DEP_4) | instskip(SKIP_4) | instid1(VALU_DEP_4)
	v_dual_fmac_f32 v7, v64, v6 :: v_dual_add_f32 v64, v87, v99
	v_fmac_f32_e32 v5, v62, v4
	v_fma_f32 v4, v23, v6, -v80
	v_mul_f32_e32 v53, v19, v53
	v_fma_f32 v6, v28, v0, -v78
	v_dual_sub_f32 v71, v5, v7 :: v_dual_add_f32 v72, v70, v5
	s_delay_alu instid0(VALU_DEP_3) | instskip(SKIP_3) | instid1(VALU_DEP_3)
	v_fmac_f32_e32 v53, v74, v32
	v_mul_f32_e32 v101, v73, v3
	v_mul_f32_e32 v83, v65, v3
	v_add_f32_e32 v5, v5, v7
	v_fma_f32 v0, v18, v2, -v101
	v_fmac_f32_e32 v33, v66, v35
	v_mul_f32_e32 v85, v26, v3
	v_dual_mul_f32 v3, v18, v3 :: v_dual_add_f32 v66, v25, v4
	v_lshlrev_b32_e32 v97, 4, v95
	v_fma_f32 v26, v26, v2, -v83
	s_delay_alu instid0(VALU_DEP_4)
	v_fmac_f32_e32 v85, v65, v2
	v_fma_f32 v18, v19, v32, -v103
	v_add_f32_e32 v65, v15, v25
	v_dual_sub_f32 v25, v25, v4 :: v_dual_fmac_f32 v70, -0.5, v5
	v_fmac_f32_e32 v3, v73, v2
	v_fma_f32 v2, v21, v30, -v102
	v_dual_sub_f32 v28, v82, v85 :: v_dual_add_f32 v73, v12, v20
	v_add_f32_e32 v74, v20, v0
	v_sub_f32_e32 v20, v20, v0
	s_delay_alu instid0(VALU_DEP_4) | instskip(SKIP_4) | instid1(VALU_DEP_4)
	v_add_f32_e32 v80, v13, v2
	v_fma_f32 v23, v29, v52, -v81
	v_add_f32_e32 v81, v2, v18
	v_add_f32_e32 v29, v67, v82
	v_fmac_f32_e32 v15, -0.5, v66
	v_dual_add_f32 v19, v16, v6 :: v_dual_add_f32 v32, v17, v23
	s_delay_alu instid0(VALU_DEP_4) | instskip(SKIP_2) | instid1(VALU_DEP_4)
	v_fmac_f32_e32 v13, -0.5, v81
	v_add_f32_e32 v35, v23, v27
	v_add_f32_e32 v83, v76, v34
	;; [unrolled: 1-line block ×3, first 2 shown]
	v_sub_f32_e32 v2, v2, v18
	s_delay_alu instid0(VALU_DEP_4)
	v_dual_add_f32 v0, v73, v0 :: v_dual_fmac_f32 v17, -0.5, v35
	v_add_f32_e32 v21, v6, v26
	v_sub_f32_e32 v6, v6, v26
	v_add_f32_e32 v26, v29, v85
	v_fma_f32 v5, -0.5, v74, v12
	v_add_f32_e32 v4, v65, v4
	v_fma_f32 v16, -0.5, v21, v16
	v_add_f32_e32 v7, v72, v7
	s_delay_alu instid0(VALU_DEP_2) | instskip(SKIP_4) | instid1(VALU_DEP_3)
	v_fmamk_f32 v29, v28, 0x3f5db3d7, v16
	v_fmac_f32_e32 v16, 0xbf5db3d7, v28
	v_add_f32_e32 v30, v82, v85
	v_sub_f32_e32 v82, v34, v53
	v_add_f32_e32 v34, v34, v53
	v_fma_f32 v21, -0.5, v30, v67
	s_delay_alu instid0(VALU_DEP_2) | instskip(SKIP_2) | instid1(VALU_DEP_3)
	v_fmac_f32_e32 v76, -0.5, v34
	v_sub_f32_e32 v52, v31, v33
	v_add_f32_e32 v31, v31, v33
	v_fmamk_f32 v61, v2, 0xbf5db3d7, v76
	v_fmac_f32_e32 v76, 0x3f5db3d7, v2
	s_delay_alu instid0(VALU_DEP_3) | instskip(SKIP_4) | instid1(VALU_DEP_4)
	v_fmac_f32_e32 v68, -0.5, v31
	v_sub_nc_u16 v2, v43, v93
	v_sub_f32_e32 v23, v23, v27
	v_dual_add_f32 v27, v32, v27 :: v_dual_add_f32 v32, v59, v33
	v_fmamk_f32 v33, v6, 0xbf5db3d7, v21
	v_and_b32_e32 v2, 0xffff, v2
	s_delay_alu instid0(VALU_DEP_4) | instskip(SKIP_4) | instid1(VALU_DEP_3)
	v_fmamk_f32 v34, v23, 0xbf5db3d7, v68
	v_fmac_f32_e32 v68, 0x3f5db3d7, v23
	v_dual_sub_f32 v62, v87, v99 :: v_dual_fmac_f32 v21, 0x3f5db3d7, v6
	v_fmamk_f32 v6, v52, 0x3f5db3d7, v17
	v_dual_fmac_f32 v17, 0xbf5db3d7, v52 :: v_dual_fmamk_f32 v52, v25, 0xbf5db3d7, v70
	v_fmamk_f32 v23, v62, 0x3f5db3d7, v14
	v_dual_fmac_f32 v14, 0xbf5db3d7, v62 :: v_dual_add_f32 v79, v75, v1
	v_fmac_f32_e32 v70, 0x3f5db3d7, v25
	v_sub_f32_e32 v78, v1, v3
	v_add_f32_e32 v1, v1, v3
	v_fma_f32 v31, -0.5, v64, v69
	v_add_f32_e32 v30, v63, v99
	v_add_f32_e32 v3, v79, v3
	v_fmamk_f32 v25, v78, 0x3f5db3d7, v5
	v_fma_f32 v12, -0.5, v1, v75
	v_add_f32_e32 v1, v80, v18
	v_dual_fmamk_f32 v35, v24, 0xbf5db3d7, v31 :: v_dual_add_f32 v18, v83, v53
	v_fmac_f32_e32 v31, 0x3f5db3d7, v24
	v_fmamk_f32 v24, v71, 0x3f5db3d7, v15
	v_fmac_f32_e32 v15, 0xbf5db3d7, v71
	v_fmac_f32_e32 v5, 0xbf5db3d7, v78
	v_fmamk_f32 v53, v20, 0xbf5db3d7, v12
	v_fmac_f32_e32 v12, 0x3f5db3d7, v20
	v_fmamk_f32 v20, v82, 0x3f5db3d7, v13
	v_fmac_f32_e32 v13, 0xbf5db3d7, v82
	ds_store_2addr_b32 v77, v19, v29 offset1:16
	ds_store_b32 v77, v16 offset:128
	ds_store_2addr_b32 v88, v27, v6 offset1:16
	ds_store_b32 v88, v17 offset:128
	;; [unrolled: 2-line block ×6, first 2 shown]
	s_waitcnt lgkmcnt(0)
	s_barrier
	buffer_gl0_inv
	ds_load_2addr_b32 v[28:29], v47 offset1:56
	ds_load_2addr_b32 v[59:60], v36 offset0:80 offset1:136
	ds_load_2addr_b32 v[62:63], v38 offset0:160 offset1:216
	;; [unrolled: 1-line block ×8, first 2 shown]
	s_waitcnt lgkmcnt(0)
	s_barrier
	buffer_gl0_inv
	ds_store_2addr_b32 v77, v26, v33 offset1:16
	ds_store_b32 v77, v21 offset:128
	ds_store_2addr_b32 v88, v32, v34 offset1:16
	ds_store_b32 v88, v68 offset:128
	;; [unrolled: 2-line block ×6, first 2 shown]
	v_and_b32_e32 v3, 0xff, v48
	s_waitcnt lgkmcnt(0)
	s_barrier
	buffer_gl0_inv
	s_clause 0x1
	global_load_b128 v[4:7], v[57:58], off offset:368
	global_load_b128 v[16:19], v97, s[4:5] offset:368
	v_lshlrev_b32_e32 v12, 4, v96
	v_lshlrev_b32_e32 v14, 4, v3
	v_sub_nc_u16 v13, v41, v94
	v_and_b32_e32 v30, 0xffff, v54
	v_mul_u32_u24_e32 v31, 0x240, v51
	s_clause 0x1
	global_load_b128 v[20:23], v12, s[4:5] offset:368
	global_load_b128 v[24:27], v14, s[4:5] offset:368
	v_and_b32_e32 v12, 0xffff, v13
	v_lshlrev_b32_e32 v13, 4, v2
	v_mul_u32_u24_e32 v30, 0x240, v30
	v_lshlrev_b32_e32 v32, 2, v95
	v_lshlrev_b32_e32 v2, 2, v2
	v_lshlrev_b32_e32 v14, 4, v12
	s_clause 0x1
	global_load_b128 v[70:73], v13, s[4:5] offset:368
	global_load_b128 v[74:77], v14, s[4:5] offset:368
	ds_load_2addr_b32 v[57:58], v36 offset0:80 offset1:136
	ds_load_2addr_b32 v[64:65], v38 offset0:160 offset1:216
	;; [unrolled: 1-line block ×4, first 2 shown]
	v_cndmask_b32_e64 v13, 0, 0x240, s0
	v_lshlrev_b32_e32 v14, 2, v50
	v_mul_u32_u24_e32 v41, 0x240, v49
	v_lshlrev_b32_e32 v12, 2, v12
	v_cmp_gt_u32_e64 s0, 32, v44
	s_delay_alu instid0(VALU_DEP_4) | instskip(SKIP_3) | instid1(VALU_DEP_3)
	v_add3_u32 v15, 0, v13, v14
	v_and_b32_e32 v13, 0xffff, v56
	v_and_b32_e32 v14, 0xffff, v55
	v_add3_u32 v41, 0, v41, v12
	v_mul_u32_u24_e32 v13, 0x240, v13
	s_delay_alu instid0(VALU_DEP_3) | instskip(NEXT) | instid1(VALU_DEP_2)
	v_mul_u32_u24_e32 v14, 0x240, v14
	v_add3_u32 v35, 0, v13, v32
	s_waitcnt vmcnt(5) lgkmcnt(3)
	v_mul_f32_e32 v48, v57, v5
	v_mul_f32_e32 v61, v59, v5
	s_waitcnt lgkmcnt(2)
	v_mul_f32_e32 v5, v64, v7
	v_mul_f32_e32 v54, v62, v7
	s_waitcnt vmcnt(4)
	v_mul_f32_e32 v7, v58, v17
	v_dual_mul_f32 v56, v60, v17 :: v_dual_mul_f32 v17, v65, v19
	v_mul_f32_e32 v55, v63, v19
	s_waitcnt vmcnt(3) lgkmcnt(1)
	v_mul_f32_e32 v19, v88, v21
	s_waitcnt lgkmcnt(0)
	v_dual_mul_f32 v50, v80, v21 :: v_dual_mul_f32 v21, v90, v23
	v_mul_f32_e32 v51, v82, v23
	s_waitcnt vmcnt(2)
	v_mul_f32_e32 v23, v89, v25
	v_dual_mul_f32 v52, v81, v25 :: v_dual_mul_f32 v25, v91, v27
	v_fma_f32 v68, v59, v4, -v48
	v_fma_f32 v69, v62, v6, -v5
	;; [unrolled: 1-line block ×4, first 2 shown]
	v_dual_fmac_f32 v61, v57, v4 :: v_dual_fmac_f32 v54, v64, v6
	v_dual_fmac_f32 v56, v58, v16 :: v_dual_fmac_f32 v55, v65, v18
	v_fma_f32 v62, v81, v24, -v23
	v_fma_f32 v64, v83, v26, -v25
	v_dual_add_f32 v5, v68, v69 :: v_dual_add_f32 v16, v66, v67
	v_fma_f32 v65, v82, v22, -v21
	v_dual_fmac_f32 v51, v90, v22 :: v_dual_add_f32 v4, v28, v68
	v_sub_f32_e32 v6, v61, v54
	v_add_f32_e32 v7, v29, v66
	v_dual_sub_f32 v17, v56, v55 :: v_dual_add_f32 v22, v62, v64
	v_fma_f32 v28, -0.5, v5, v28
	v_lshlrev_b32_e32 v33, 2, v96
	v_fmac_f32_e32 v29, -0.5, v16
	v_lshlrev_b32_e32 v3, 2, v3
	v_add_f32_e32 v21, v79, v62
	v_dual_fmac_f32 v79, -0.5, v22 :: v_dual_fmamk_f32 v22, v6, 0x3f5db3d7, v28
	v_fmac_f32_e32 v28, 0xbf5db3d7, v6
	v_fmamk_f32 v6, v17, 0x3f5db3d7, v29
	v_add3_u32 v34, 0, v14, v33
	v_add3_u32 v32, 0, v30, v3
	;; [unrolled: 1-line block ×3, first 2 shown]
	ds_load_2addr_b32 v[30:31], v47 offset1:56
	ds_load_2addr_b32 v[13:14], v47 offset0:112 offset1:168
	ds_load_2addr_b32 v[2:3], v39 offset0:96 offset1:152
	;; [unrolled: 1-line block ×4, first 2 shown]
	v_mul_f32_e32 v53, v83, v27
	s_waitcnt vmcnt(1)
	v_dual_mul_f32 v12, v84, v71 :: v_dual_mul_f32 v39, v86, v73
	s_waitcnt vmcnt(0)
	v_mul_f32_e32 v49, v85, v75
	v_fma_f32 v63, v80, v20, -v19
	v_dual_mul_f32 v43, v87, v77 :: v_dual_fmac_f32 v50, v88, v20
	v_dual_fmac_f32 v52, v89, v24 :: v_dual_fmac_f32 v53, v91, v26
	s_delay_alu instid0(VALU_DEP_3) | instskip(NEXT) | instid1(VALU_DEP_3)
	v_dual_add_f32 v18, v78, v63 :: v_dual_add_f32 v19, v63, v65
	v_sub_f32_e32 v20, v50, v51
	v_add_f32_e32 v7, v7, v67
	s_delay_alu instid0(VALU_DEP_4) | instskip(NEXT) | instid1(VALU_DEP_4)
	v_sub_f32_e32 v23, v52, v53
	v_add_f32_e32 v16, v18, v65
	v_fma_f32 v18, -0.5, v19, v78
	v_fmac_f32_e32 v29, 0xbf5db3d7, v17
	v_add_f32_e32 v19, v21, v64
	s_waitcnt lgkmcnt(1)
	v_mul_f32_e32 v27, v92, v71
	s_waitcnt lgkmcnt(0)
	v_mul_f32_e32 v71, v94, v73
	v_mul_f32_e32 v73, v93, v75
	v_dual_mul_f32 v75, v95, v77 :: v_dual_fmac_f32 v12, v92, v70
	v_fma_f32 v57, v84, v70, -v27
	s_delay_alu instid0(VALU_DEP_4) | instskip(NEXT) | instid1(VALU_DEP_4)
	v_fma_f32 v59, v86, v72, -v71
	v_fma_f32 v58, v85, v74, -v73
	s_delay_alu instid0(VALU_DEP_4)
	v_fma_f32 v60, v87, v76, -v75
	v_fmac_f32_e32 v39, v94, v72
	v_fmac_f32_e32 v49, v93, v74
	v_add_f32_e32 v25, v57, v59
	v_fmac_f32_e32 v43, v95, v76
	v_add_f32_e32 v48, v58, v60
	v_add_f32_e32 v24, v0, v57
	v_sub_f32_e32 v26, v12, v39
	v_add_f32_e32 v71, v4, v69
	v_fma_f32 v4, -0.5, v25, v0
	v_add_f32_e32 v27, v1, v58
	v_dual_sub_f32 v70, v49, v43 :: v_dual_fmac_f32 v1, -0.5, v48
	v_add_f32_e32 v21, v24, v59
	v_fmamk_f32 v17, v20, 0x3f5db3d7, v18
	v_fmac_f32_e32 v18, 0xbf5db3d7, v20
	v_fmamk_f32 v20, v23, 0x3f5db3d7, v79
	v_fmac_f32_e32 v79, 0xbf5db3d7, v23
	v_fmamk_f32 v23, v26, 0x3f5db3d7, v4
	s_barrier
	buffer_gl0_inv
	v_dual_add_f32 v5, v27, v60 :: v_dual_fmac_f32 v4, 0xbf5db3d7, v26
	v_fmamk_f32 v0, v70, 0x3f5db3d7, v1
	v_fmac_f32_e32 v1, 0xbf5db3d7, v70
	ds_store_2addr_b32 v15, v71, v22 offset1:48
	ds_store_b32 v15, v28 offset:384
	ds_store_2addr_b32 v35, v7, v6 offset1:48
	ds_store_b32 v35, v29 offset:384
	ds_store_2addr_b32 v34, v16, v17 offset1:48
	ds_store_b32 v34, v18 offset:384
	ds_store_2addr_b32 v32, v19, v20 offset1:48
	ds_store_b32 v32, v79 offset:384
	ds_store_2addr_b32 v33, v21, v23 offset1:48
	ds_store_b32 v33, v4 offset:384
	ds_store_2addr_b32 v41, v5, v0 offset1:48
	ds_store_b32 v41, v1 offset:384
	s_waitcnt lgkmcnt(0)
	s_barrier
	buffer_gl0_inv
	ds_load_2addr_b32 v[16:17], v47 offset1:56
	ds_load_2addr_b32 v[24:25], v47 offset0:144 offset1:200
	ds_load_2addr_b32 v[18:19], v36 offset0:32 offset1:88
	;; [unrolled: 1-line block ×6, first 2 shown]
                                        ; implicit-def: $vgpr6
                                        ; implicit-def: $vgpr48
	s_and_saveexec_b32 s1, s0
	s_cbranch_execz .LBB0_15
; %bb.14:
	v_add_nc_u32_e32 v4, 0x100, v47
	ds_load_2addr_b32 v[0:1], v37 offset0:16 offset1:160
	ds_load_2addr_b32 v[6:7], v40 offset0:48 offset1:192
	;; [unrolled: 1-line block ×3, first 2 shown]
	ds_load_b32 v48, v47 offset:3904
.LBB0_15:
	s_or_b32 exec_lo, exec_lo, s1
	v_dual_add_f32 v37, v61, v54 :: v_dual_sub_f32 v68, v68, v69
	v_add_f32_e32 v61, v30, v61
	v_add_f32_e32 v69, v56, v55
	s_waitcnt lgkmcnt(0)
	s_delay_alu instid0(VALU_DEP_3) | instskip(SKIP_1) | instid1(VALU_DEP_3)
	v_fma_f32 v30, -0.5, v37, v30
	v_dual_add_f32 v37, v31, v56 :: v_dual_sub_f32 v56, v66, v67
	v_dual_add_f32 v54, v61, v54 :: v_dual_fmac_f32 v31, -0.5, v69
	s_barrier
	s_delay_alu instid0(VALU_DEP_2) | instskip(SKIP_1) | instid1(VALU_DEP_3)
	v_add_f32_e32 v37, v37, v55
	v_dual_add_f32 v55, v50, v51 :: v_dual_add_f32 v50, v13, v50
	v_fmamk_f32 v66, v56, 0xbf5db3d7, v31
	v_dual_fmac_f32 v31, 0x3f5db3d7, v56 :: v_dual_add_f32 v56, v52, v53
	s_delay_alu instid0(VALU_DEP_3) | instskip(NEXT) | instid1(VALU_DEP_4)
	v_dual_fmamk_f32 v61, v68, 0xbf5db3d7, v30 :: v_dual_add_f32 v50, v50, v51
	v_fma_f32 v55, -0.5, v55, v13
	v_sub_f32_e32 v13, v63, v65
	v_add_f32_e32 v51, v14, v52
	v_fmac_f32_e32 v14, -0.5, v56
	v_sub_f32_e32 v52, v62, v64
	v_add_f32_e32 v62, v2, v12
	v_fmamk_f32 v56, v13, 0xbf5db3d7, v55
	v_fmac_f32_e32 v55, 0x3f5db3d7, v13
	v_add_f32_e32 v51, v51, v53
	v_add_f32_e32 v13, v12, v39
	v_fmamk_f32 v53, v52, 0xbf5db3d7, v14
	v_fmac_f32_e32 v14, 0x3f5db3d7, v52
	v_add_f32_e32 v52, v49, v43
	v_fmac_f32_e32 v30, 0x3f5db3d7, v68
	v_fma_f32 v12, -0.5, v13, v2
	v_dual_sub_f32 v2, v57, v59 :: v_dual_add_f32 v13, v3, v49
	s_delay_alu instid0(VALU_DEP_4) | instskip(SKIP_2) | instid1(VALU_DEP_4)
	v_fmac_f32_e32 v3, -0.5, v52
	v_sub_f32_e32 v49, v58, v60
	v_add_f32_e32 v39, v62, v39
	v_fmamk_f32 v52, v2, 0xbf5db3d7, v12
	v_dual_fmac_f32 v12, 0x3f5db3d7, v2 :: v_dual_add_f32 v13, v13, v43
	s_delay_alu instid0(VALU_DEP_4)
	v_fmamk_f32 v2, v49, 0xbf5db3d7, v3
	v_fmac_f32_e32 v3, 0x3f5db3d7, v49
	buffer_gl0_inv
	ds_store_2addr_b32 v15, v54, v61 offset1:48
	ds_store_b32 v15, v30 offset:384
	ds_store_2addr_b32 v35, v37, v66 offset1:48
	ds_store_b32 v35, v31 offset:384
	;; [unrolled: 2-line block ×6, first 2 shown]
	s_waitcnt lgkmcnt(0)
	s_barrier
	buffer_gl0_inv
	ds_load_2addr_b32 v[30:31], v47 offset1:56
	ds_load_2addr_b32 v[34:35], v47 offset0:144 offset1:200
	ds_load_2addr_b32 v[32:33], v36 offset0:32 offset1:88
	;; [unrolled: 1-line block ×6, first 2 shown]
                                        ; implicit-def: $vgpr14
                                        ; implicit-def: $vgpr49
	s_and_saveexec_b32 s1, s0
	s_cbranch_execz .LBB0_17
; %bb.16:
	v_add_nc_u32_e32 v2, 0x100, v47
	v_add_nc_u32_e32 v3, 0x600, v47
	;; [unrolled: 1-line block ×3, first 2 shown]
	ds_load_2addr_b32 v[12:13], v2 offset0:48 offset1:192
	ds_load_2addr_b32 v[2:3], v3 offset0:16 offset1:160
	;; [unrolled: 1-line block ×3, first 2 shown]
	ds_load_b32 v49, v47 offset:3904
.LBB0_17:
	s_or_b32 exec_lo, exec_lo, s1
	s_and_saveexec_b32 s1, vcc_lo
	s_cbranch_execz .LBB0_20
; %bb.18:
	v_mul_u32_u24_e32 v46, 6, v46
	v_mul_u32_u24_e32 v47, 6, v44
	v_mul_hi_u32 v75, 0x38e38e39, v44
	v_mul_lo_u32 v74, s3, v10
	v_mul_lo_u32 v11, s2, v11
	v_lshlrev_b32_e32 v46, 3, v46
	s_clause 0x2
	global_load_b128 v[50:53], v46, s[4:5] offset:1136
	global_load_b128 v[54:57], v46, s[4:5] offset:1168
	;; [unrolled: 1-line block ×3, first 2 shown]
	v_lshlrev_b32_e32 v46, 3, v47
	v_add_nc_u32_e32 v76, 56, v44
	s_clause 0x2
	global_load_b128 v[62:65], v46, s[4:5] offset:1136
	global_load_b128 v[66:69], v46, s[4:5] offset:1168
	;; [unrolled: 1-line block ×3, first 2 shown]
	v_mad_u64_u32 v[46:47], null, s2, v10, 0
	v_lshrrev_b32_e32 v10, 5, v75
	s_delay_alu instid0(VALU_DEP_2) | instskip(NEXT) | instid1(VALU_DEP_2)
	v_add3_u32 v47, v47, v11, v74
	v_mul_lo_u32 v11, 0x90, v10
	v_lshlrev_b64 v[74:75], 3, v[8:9]
	v_dual_mov_b32 v9, 0 :: v_dual_add_nc_u32 v10, 0x70, v44
	s_delay_alu instid0(VALU_DEP_4) | instskip(NEXT) | instid1(VALU_DEP_4)
	v_lshlrev_b64 v[46:47], 3, v[46:47]
	v_sub_nc_u32_e32 v11, v44, v11
	s_delay_alu instid0(VALU_DEP_2) | instskip(NEXT) | instid1(VALU_DEP_1)
	v_add_co_u32 v46, s1, s10, v46
	v_add_co_ci_u32_e64 v47, s1, s11, v47, s1
	s_delay_alu instid0(VALU_DEP_3) | instskip(NEXT) | instid1(VALU_DEP_3)
	v_lshlrev_b32_e32 v11, 3, v11
	v_add_co_u32 v46, s1, v46, v74
	s_delay_alu instid0(VALU_DEP_1) | instskip(NEXT) | instid1(VALU_DEP_2)
	v_add_co_ci_u32_e64 v47, s1, v47, v75, s1
	v_add_co_u32 v74, s1, v46, v11
	s_delay_alu instid0(VALU_DEP_1) | instskip(NEXT) | instid1(VALU_DEP_2)
	v_add_co_ci_u32_e64 v75, s1, 0, v47, s1
	v_add_co_u32 v79, s1, 0x1000, v74
	s_delay_alu instid0(VALU_DEP_1)
	v_add_co_ci_u32_e64 v80, s1, 0, v75, s1
	s_waitcnt vmcnt(5) lgkmcnt(4)
	v_mul_f32_e32 v94, v33, v53
	s_waitcnt vmcnt(4) lgkmcnt(0)
	v_mul_f32_e32 v11, v43, v57
	v_mul_hi_u32 v77, 0x38e38e39, v76
	s_waitcnt vmcnt(3)
	v_mul_f32_e32 v93, v37, v59
	v_mul_f32_e32 v53, v19, v53
	v_cmp_gt_u32_e32 vcc_lo, 0x90, v10
	s_waitcnt vmcnt(2)
	v_mul_f32_e32 v96, v34, v63
	v_mul_f32_e32 v100, v32, v65
	s_waitcnt vmcnt(0)
	v_dual_mul_f32 v98, v38, v73 :: v_dual_mul_f32 v101, v40, v67
	v_lshrrev_b32_e32 v78, 5, v77
	v_mul_f32_e32 v99, v36, v71
	v_fma_f32 v11, v29, v56, -v11
	v_mul_f32_e32 v67, v22, v67
	v_fma_f32 v19, v19, v52, -v94
	v_mul_lo_u32 v77, 0x90, v78
	v_fma_f32 v22, v22, v66, -v101
	v_mul_f32_e32 v59, v21, v59
	v_fma_f32 v21, v21, v58, -v93
	v_mul_f32_e32 v95, v41, v55
	v_mul_f32_e32 v57, v29, v57
	v_mul_f32_e32 v55, v23, v55
	v_mul_f32_e32 v97, v42, v69
	v_sub_nc_u32_e32 v8, v76, v77
	v_fma_f32 v23, v23, v54, -v95
	v_mul_f32_e32 v69, v28, v69
	s_delay_alu instid0(VALU_DEP_3) | instskip(NEXT) | instid1(VALU_DEP_1)
	v_mad_u64_u32 v[76:77], null, 0x3f0, v78, v[8:9]
	v_dual_mov_b32 v77, v9 :: v_dual_add_nc_u32 v8, 0x90, v76
	s_delay_alu instid0(VALU_DEP_1) | instskip(NEXT) | instid1(VALU_DEP_2)
	v_lshlrev_b64 v[77:78], 3, v[76:77]
	v_lshlrev_b64 v[81:82], 3, v[8:9]
	v_add_nc_u32_e32 v8, 0x120, v76
	s_delay_alu instid0(VALU_DEP_3) | instskip(NEXT) | instid1(VALU_DEP_1)
	v_add_co_u32 v77, s1, v46, v77
	v_add_co_ci_u32_e64 v78, s1, v47, v78, s1
	s_delay_alu instid0(VALU_DEP_3) | instskip(SKIP_2) | instid1(VALU_DEP_1)
	v_lshlrev_b64 v[83:84], 3, v[8:9]
	v_add_nc_u32_e32 v8, 0x1b0, v76
	v_add_co_u32 v81, s1, v46, v81
	v_add_co_ci_u32_e64 v82, s1, v47, v82, s1
	s_delay_alu instid0(VALU_DEP_3) | instskip(SKIP_2) | instid1(VALU_DEP_1)
	v_lshlrev_b64 v[85:86], 3, v[8:9]
	v_add_nc_u32_e32 v8, 0x240, v76
	;; [unrolled: 5-line block ×3, first 2 shown]
	v_add_co_u32 v85, s1, v46, v85
	v_add_co_ci_u32_e64 v86, s1, v47, v86, s1
	s_delay_alu instid0(VALU_DEP_3) | instskip(SKIP_4) | instid1(VALU_DEP_4)
	v_lshlrev_b64 v[89:90], 3, v[8:9]
	v_add_nc_u32_e32 v8, 0x360, v76
	v_mul_f32_e32 v76, v39, v61
	v_mul_f32_e32 v61, v27, v61
	v_add_co_u32 v87, s1, v46, v87
	v_lshlrev_b64 v[91:92], 3, v[8:9]
	v_mul_f32_e32 v8, v35, v51
	v_mul_f32_e32 v51, v25, v51
	v_fma_f32 v27, v27, v60, -v76
	v_add_co_ci_u32_e64 v88, s1, v47, v88, s1
	s_delay_alu instid0(VALU_DEP_4)
	v_fma_f32 v8, v25, v50, -v8
	v_mul_f32_e32 v73, v26, v73
	v_fmac_f32_e32 v59, v37, v58
	v_fma_f32 v25, v28, v68, -v97
	v_fmac_f32_e32 v61, v39, v60
	v_fma_f32 v26, v26, v72, -v98
	v_mul_f32_e32 v71, v20, v71
	v_fma_f32 v20, v20, v70, -v99
	v_sub_f32_e32 v28, v8, v11
	v_dual_add_f32 v8, v8, v11 :: v_dual_mul_f32 v65, v18, v65
	v_fma_f32 v18, v18, v64, -v100
	v_mul_f32_e32 v63, v24, v63
	v_fma_f32 v24, v24, v62, -v96
	v_fmac_f32_e32 v73, v38, v72
	v_sub_f32_e32 v37, v26, v20
	v_sub_f32_e32 v38, v18, v22
	v_fmac_f32_e32 v63, v34, v62
	v_dual_add_f32 v20, v26, v20 :: v_dual_fmac_f32 v71, v36, v70
	v_sub_f32_e32 v36, v24, v25
	v_dual_add_f32 v34, v61, v59 :: v_dual_fmac_f32 v65, v32, v64
	v_sub_f32_e32 v32, v19, v23
	v_add_f32_e32 v11, v27, v21
	v_add_f32_e32 v19, v19, v23
	v_fmac_f32_e32 v57, v43, v56
	v_dual_fmac_f32 v55, v41, v54 :: v_dual_add_f32 v24, v24, v25
	v_dual_fmac_f32 v53, v33, v52 :: v_dual_add_f32 v18, v18, v22
	s_delay_alu instid0(VALU_DEP_4)
	v_dual_fmac_f32 v67, v40, v66 :: v_dual_sub_f32 v54, v11, v19
	v_fmac_f32_e32 v51, v35, v50
	v_sub_f32_e32 v29, v27, v21
	v_fmac_f32_e32 v69, v42, v68
	v_add_f32_e32 v35, v53, v55
	v_add_f32_e32 v40, v73, v71
	v_dual_sub_f32 v26, v65, v67 :: v_dual_add_f32 v33, v51, v57
	v_dual_sub_f32 v62, v20, v18 :: v_dual_sub_f32 v21, v51, v57
	v_dual_sub_f32 v27, v53, v55 :: v_dual_sub_f32 v42, v28, v29
	v_sub_f32_e32 v53, v8, v11
	v_dual_add_f32 v55, v8, v19 :: v_dual_sub_f32 v8, v19, v8
	v_add_f32_e32 v52, v33, v35
	v_sub_f32_e32 v22, v63, v69
	v_add_f32_e32 v39, v63, v69
	v_sub_f32_e32 v23, v61, v59
	v_sub_f32_e32 v50, v33, v34
	;; [unrolled: 1-line block ×4, first 2 shown]
	v_dual_sub_f32 v58, v39, v40 :: v_dual_add_f32 v63, v24, v18
	v_sub_f32_e32 v24, v18, v24
	v_sub_f32_e32 v56, v21, v23
	v_add_f32_e32 v41, v65, v67
	v_sub_f32_e32 v51, v34, v35
	v_add_f32_e32 v34, v34, v52
	v_mul_f32_e32 v52, 0x3d64c772, v54
	v_dual_sub_f32 v64, v22, v25 :: v_dual_sub_f32 v65, v25, v26
	v_add_f32_e32 v25, v25, v26
	v_sub_f32_e32 v26, v26, v22
	v_add_f32_e32 v60, v39, v41
	v_sub_f32_e32 v57, v23, v27
	v_sub_f32_e32 v43, v29, v32
	v_add_f32_e32 v29, v29, v32
	v_sub_f32_e32 v59, v40, v41
	s_delay_alu instid0(VALU_DEP_4) | instskip(NEXT) | instid1(VALU_DEP_4)
	v_dual_sub_f32 v39, v41, v39 :: v_dual_mul_f32 v54, 0xbf08b237, v57
	v_dual_mul_f32 v41, 0xbf08b237, v43 :: v_dual_sub_f32 v32, v32, v28
	s_delay_alu instid0(VALU_DEP_4) | instskip(SKIP_2) | instid1(VALU_DEP_4)
	v_add_f32_e32 v28, v28, v29
	v_dual_add_f32 v40, v40, v60 :: v_dual_mul_f32 v43, 0x3d64c772, v51
	v_dual_add_f32 v23, v23, v27 :: v_dual_mul_f32 v60, 0x3d64c772, v62
	v_fmamk_f32 v66, v42, 0x3eae86e6, v41
	s_delay_alu instid0(VALU_DEP_3) | instskip(SKIP_1) | instid1(VALU_DEP_3)
	v_dual_mul_f32 v29, 0x3f4a47b2, v50 :: v_dual_fmamk_f32 v50, v50, 0x3f4a47b2, v43
	v_dual_mul_f32 v51, 0x3f4a47b2, v53 :: v_dual_add_f32 v18, v31, v34
	v_dual_fmac_f32 v66, 0x3ee1c552, v28 :: v_dual_sub_f32 v33, v35, v33
	v_dual_add_f32 v62, v20, v63 :: v_dual_sub_f32 v35, v37, v38
	v_add_f32_e32 v20, v30, v40
	v_fmamk_f32 v30, v61, 0x3f4a47b2, v60
	v_mul_f32_e32 v57, 0x3d64c772, v59
	v_sub_f32_e32 v19, v27, v21
	v_add_f32_e32 v21, v21, v23
	v_mul_f32_e32 v23, 0x3f5ff5aa, v32
	v_sub_f32_e32 v27, v36, v37
	v_fma_f32 v32, 0x3f5ff5aa, v32, -v41
	v_fmamk_f32 v31, v53, 0x3f4a47b2, v52
	v_add_co_u32 v89, s1, v46, v89
	v_fma_f32 v42, 0xbeae86e6, v42, -v23
	v_fma_f32 v23, 0xbf3bfb3b, v33, -v29
	;; [unrolled: 1-line block ×5, first 2 shown]
	v_fmac_f32_e32 v42, 0x3ee1c552, v28
	v_mul_f32_e32 v35, 0xbf08b237, v35
	v_mul_f32_e32 v63, 0xbf08b237, v65
	v_dual_add_f32 v37, v37, v38 :: v_dual_sub_f32 v38, v38, v36
	v_fmamk_f32 v52, v58, 0x3f4a47b2, v57
	v_fma_f32 v41, 0x3f5ff5aa, v19, -v54
	v_fmamk_f32 v43, v27, 0x3eae86e6, v35
	v_fmac_f32_e32 v32, 0x3ee1c552, v28
	v_dual_add_f32 v22, v22, v25 :: v_dual_add_f32 v11, v11, v55
	v_mul_f32_e32 v55, 0x3f5ff5aa, v19
	v_add_f32_e32 v19, v16, v62
	v_fmamk_f32 v16, v64, 0x3eae86e6, v63
	v_add_f32_e32 v36, v36, v37
	v_fma_f32 v35, 0x3f5ff5aa, v38, -v35
	v_fma_f32 v51, 0xbeae86e6, v56, -v55
	v_fmamk_f32 v28, v62, 0xbf955555, v19
	s_delay_alu instid0(VALU_DEP_4)
	v_dual_fmac_f32 v16, 0x3ee1c552, v22 :: v_dual_fmac_f32 v43, 0x3ee1c552, v36
	v_mul_f32_e32 v25, 0x3f5ff5aa, v38
	v_fmac_f32_e32 v35, 0x3ee1c552, v36
	v_mul_f32_e32 v65, 0x3f5ff5aa, v26
	v_fmamk_f32 v53, v56, 0x3eae86e6, v54
	v_fma_f32 v56, 0x3f5ff5aa, v26, -v63
	v_fmamk_f32 v26, v34, 0xbf955555, v18
	v_fma_f32 v54, 0xbeae86e6, v27, -v25
	v_add_f32_e32 v17, v17, v11
	v_add_co_ci_u32_e64 v90, s1, v47, v90, s1
	v_fmac_f32_e32 v56, 0x3ee1c552, v22
	v_add_f32_e32 v33, v33, v26
	v_mul_f32_e32 v37, 0x3f4a47b2, v58
	v_dual_fmac_f32 v54, 0x3ee1c552, v36 :: v_dual_fmac_f32 v53, 0x3ee1c552, v21
	v_fmac_f32_e32 v51, 0x3ee1c552, v21
	v_fmac_f32_e32 v41, 0x3ee1c552, v21
	v_dual_fmamk_f32 v21, v40, 0xbf955555, v20 :: v_dual_add_f32 v34, v50, v26
	v_add_f32_e32 v36, v23, v26
	v_sub_f32_e32 v26, v33, v32
	v_fma_f32 v25, 0xbf3bfb3b, v39, -v37
	v_fma_f32 v37, 0x3f3bfb3b, v39, -v57
	v_mul_f32_e32 v59, 0x3f4a47b2, v61
	v_dual_add_f32 v39, v30, v28 :: v_dual_sub_f32 v30, v36, v42
	v_fmamk_f32 v11, v11, 0xbf955555, v17
	s_delay_alu instid0(VALU_DEP_4) | instskip(NEXT) | instid1(VALU_DEP_4)
	v_add_f32_e32 v37, v37, v21
	v_fma_f32 v27, 0xbf3bfb3b, v24, -v59
	v_fma_f32 v24, 0x3f3bfb3b, v24, -v60
	v_add_f32_e32 v50, v25, v21
	v_add_co_u32 v91, s1, v46, v91
	v_sub_f32_e32 v38, v37, v35
	v_fma_f32 v55, 0xbeae86e6, v64, -v65
	v_add_f32_e32 v57, v24, v28
	v_add_f32_e32 v24, v42, v36
	;; [unrolled: 1-line block ×3, first 2 shown]
	v_sub_f32_e32 v42, v50, v54
	v_add_f32_e32 v50, v16, v39
	v_add_f32_e32 v31, v31, v11
	;; [unrolled: 1-line block ×5, first 2 shown]
	v_dual_fmac_f32 v55, 0x3ee1c552, v22 :: v_dual_add_f32 v52, v27, v28
	s_delay_alu instid0(VALU_DEP_4) | instskip(SKIP_1) | instid1(VALU_DEP_4)
	v_sub_f32_e32 v23, v29, v51
	v_add_f32_e32 v29, v51, v29
	v_sub_f32_e32 v51, v11, v43
	v_add_f32_e32 v25, v41, v8
	v_sub_f32_e32 v27, v8, v41
	v_dual_add_f32 v41, v55, v52 :: v_dual_add_f32 v28, v32, v33
	v_sub_f32_e32 v33, v39, v16
	v_dual_add_f32 v40, v35, v37 :: v_dual_sub_f32 v39, v57, v56
	v_add_f32_e32 v37, v56, v57
	v_add_co_ci_u32_e64 v92, s1, v47, v92, s1
	v_dual_add_f32 v22, v66, v34 :: v_dual_sub_f32 v21, v31, v53
	v_dual_sub_f32 v32, v34, v66 :: v_dual_add_f32 v31, v53, v31
	v_add_f32_e32 v34, v43, v11
	v_sub_f32_e32 v35, v52, v55
	s_clause 0xd
	global_store_b64 v[74:75], v[19:20], off
	global_store_b64 v[74:75], v[50:51], off offset:1152
	global_store_b64 v[74:75], v[41:42], off offset:2304
	global_store_b64 v[74:75], v[39:40], off offset:3456
	global_store_b64 v[79:80], v[37:38], off offset:512
	global_store_b64 v[79:80], v[35:36], off offset:1664
	global_store_b64 v[79:80], v[33:34], off offset:2816
	global_store_b64 v[77:78], v[17:18], off
	global_store_b64 v[81:82], v[31:32], off
	;; [unrolled: 1-line block ×7, first 2 shown]
	s_and_b32 exec_lo, exec_lo, vcc_lo
	s_cbranch_execz .LBB0_20
; %bb.19:
	v_subrev_nc_u32_e32 v8, 32, v44
	v_mov_b32_e32 v11, v9
	s_delay_alu instid0(VALU_DEP_2) | instskip(NEXT) | instid1(VALU_DEP_1)
	v_cndmask_b32_e64 v8, v8, v45, s0
	v_mul_i32_i24_e32 v8, 6, v8
	s_delay_alu instid0(VALU_DEP_1) | instskip(SKIP_2) | instid1(VALU_DEP_2)
	v_lshlrev_b64 v[16:17], 3, v[8:9]
	v_add_nc_u32_e32 v8, 0x100, v44
	v_lshlrev_b64 v[10:11], 3, v[10:11]
	v_lshlrev_b64 v[28:29], 3, v[8:9]
	s_delay_alu instid0(VALU_DEP_4) | instskip(SKIP_1) | instid1(VALU_DEP_4)
	v_add_co_u32 v24, vcc_lo, s4, v16
	v_add_co_ci_u32_e32 v25, vcc_lo, s5, v17, vcc_lo
	v_add_co_u32 v10, vcc_lo, v46, v10
	s_clause 0x2
	global_load_b128 v[16:19], v[24:25], off offset:1136
	global_load_b128 v[20:23], v[24:25], off offset:1152
	;; [unrolled: 1-line block ×3, first 2 shown]
	v_add_nc_u32_e32 v8, 0x190, v44
	v_add_co_ci_u32_e32 v11, vcc_lo, v47, v11, vcc_lo
	v_add_co_u32 v28, vcc_lo, v46, v28
	v_add_co_ci_u32_e32 v29, vcc_lo, v47, v29, vcc_lo
	s_waitcnt vmcnt(2)
	v_mul_f32_e32 v38, v13, v17
	v_mul_f32_e32 v17, v5, v17
	v_lshlrev_b64 v[30:31], 3, v[8:9]
	v_dual_mul_f32 v39, v2, v19 :: v_dual_add_nc_u32 v8, 0x220, v44
	s_waitcnt vmcnt(1)
	v_dual_mul_f32 v19, v0, v19 :: v_dual_mul_f32 v40, v3, v21
	s_waitcnt vmcnt(0)
	v_mul_f32_e32 v43, v49, v27
	v_lshlrev_b64 v[32:33], 3, v[8:9]
	v_dual_mul_f32 v21, v1, v21 :: v_dual_add_nc_u32 v8, 0x2b0, v44
	v_dual_mul_f32 v42, v15, v25 :: v_dual_mul_f32 v27, v48, v27
	v_fma_f32 v0, v0, v18, -v39
	s_delay_alu instid0(VALU_DEP_3) | instskip(SKIP_4) | instid1(VALU_DEP_4)
	v_lshlrev_b64 v[34:35], 3, v[8:9]
	v_dual_mul_f32 v41, v14, v23 :: v_dual_add_nc_u32 v8, 0x340, v44
	v_mul_f32_e32 v23, v6, v23
	v_fma_f32 v5, v5, v16, -v38
	v_fma_f32 v1, v1, v20, -v40
	v_lshlrev_b64 v[36:37], 3, v[8:9]
	v_add_nc_u32_e32 v8, 0x3d0, v44
	v_fmac_f32_e32 v21, v3, v20
	v_fma_f32 v3, v48, v26, -v43
	v_fmac_f32_e32 v23, v14, v22
	v_fmac_f32_e32 v19, v2, v18
	v_fma_f32 v2, v6, v22, -v41
	v_fma_f32 v6, v7, v24, -v42
	v_mul_f32_e32 v25, v7, v25
	v_fmac_f32_e32 v17, v13, v16
	v_add_co_u32 v30, vcc_lo, v46, v30
	s_delay_alu instid0(VALU_DEP_4)
	v_add_f32_e32 v14, v0, v6
	v_sub_f32_e32 v0, v0, v6
	v_add_f32_e32 v16, v1, v2
	v_add_f32_e32 v7, v5, v3
	v_sub_f32_e32 v1, v2, v1
	v_fmac_f32_e32 v25, v15, v24
	v_add_co_ci_u32_e32 v31, vcc_lo, v47, v31, vcc_lo
	s_delay_alu instid0(VALU_DEP_4) | instskip(NEXT) | instid1(VALU_DEP_4)
	v_add_f32_e32 v18, v14, v7
	v_add_f32_e32 v22, v1, v0
	v_dual_sub_f32 v2, v23, v21 :: v_dual_fmac_f32 v27, v49, v26
	v_dual_sub_f32 v6, v19, v25 :: v_dual_sub_f32 v3, v5, v3
	v_dual_add_f32 v15, v19, v25 :: v_dual_sub_f32 v20, v14, v7
	s_delay_alu instid0(VALU_DEP_3)
	v_add_f32_e32 v13, v17, v27
	v_dual_sub_f32 v5, v17, v27 :: v_dual_sub_f32 v14, v16, v14
	v_add_f32_e32 v17, v21, v23
	v_sub_f32_e32 v7, v7, v16
	v_add_f32_e32 v23, v2, v6
	v_add_f32_e32 v16, v16, v18
	v_sub_f32_e32 v25, v2, v6
	v_sub_f32_e32 v2, v5, v2
	;; [unrolled: 1-line block ×5, first 2 shown]
	v_add_f32_e32 v19, v15, v13
	v_sub_f32_e32 v27, v0, v3
	v_sub_f32_e32 v21, v15, v13
	v_dual_add_f32 v3, v22, v3 :: v_dual_mul_f32 v18, 0x3d64c772, v14
	v_dual_sub_f32 v13, v13, v17 :: v_dual_add_f32 v0, v4, v16
	v_mul_f32_e32 v22, 0xbf08b237, v24
	v_mul_f32_e32 v24, 0x3f5ff5aa, v27
	;; [unrolled: 1-line block ×3, first 2 shown]
	v_sub_f32_e32 v15, v17, v15
	v_mul_f32_e32 v13, 0x3f4a47b2, v13
	v_add_co_u32 v32, vcc_lo, v46, v32
	s_delay_alu instid0(VALU_DEP_4) | instskip(SKIP_3) | instid1(VALU_DEP_4)
	v_dual_fmamk_f32 v4, v14, 0x3d64c772, v7 :: v_dual_add_f32 v17, v17, v19
	v_fma_f32 v14, 0x3f3bfb3b, v20, -v18
	v_fmamk_f32 v18, v26, 0x3eae86e6, v22
	v_add_co_ci_u32_e32 v33, vcc_lo, v47, v33, vcc_lo
	v_dual_add_f32 v1, v12, v17 :: v_dual_fmamk_f32 v12, v15, 0x3d64c772, v13
	v_add_f32_e32 v5, v23, v5
	v_mul_f32_e32 v23, 0xbf08b237, v25
	v_mul_f32_e32 v25, 0x3f5ff5aa, v6
	v_fma_f32 v13, 0xbf3bfb3b, v21, -v13
	v_mul_f32_e32 v19, 0x3d64c772, v15
	v_add_co_u32 v34, vcc_lo, v46, v34
	v_lshlrev_b64 v[8:9], 3, v[8:9]
	v_add_co_ci_u32_e32 v35, vcc_lo, v47, v35, vcc_lo
	s_delay_alu instid0(VALU_DEP_4)
	v_fma_f32 v15, 0x3f3bfb3b, v21, -v19
	v_fmamk_f32 v19, v2, 0x3eae86e6, v23
	v_fma_f32 v21, 0x3f5ff5aa, v6, -v23
	v_fma_f32 v23, 0xbeae86e6, v2, -v25
	v_fmamk_f32 v2, v16, 0xbf955555, v0
	v_add_co_u32 v36, vcc_lo, v46, v36
	v_add_co_ci_u32_e32 v37, vcc_lo, v47, v37, vcc_lo
	s_delay_alu instid0(VALU_DEP_3) | instskip(SKIP_4) | instid1(VALU_DEP_4)
	v_add_f32_e32 v16, v4, v2
	v_fmamk_f32 v6, v17, 0xbf955555, v1
	v_fmac_f32_e32 v18, 0x3ee1c552, v3
	v_add_co_u32 v8, vcc_lo, v46, v8
	v_add_co_ci_u32_e32 v9, vcc_lo, v47, v9, vcc_lo
	v_add_f32_e32 v17, v12, v6
	v_add_f32_e32 v12, v14, v2
	v_fma_f32 v7, 0xbf3bfb3b, v20, -v7
	v_fmac_f32_e32 v23, 0x3ee1c552, v5
	v_fma_f32 v20, 0x3f5ff5aa, v27, -v22
	v_fma_f32 v22, 0xbeae86e6, v26, -v24
	v_add_f32_e32 v24, v13, v6
	v_dual_add_f32 v14, v7, v2 :: v_dual_fmac_f32 v21, 0x3ee1c552, v5
	s_delay_alu instid0(VALU_DEP_4) | instskip(NEXT) | instid1(VALU_DEP_4)
	v_fmac_f32_e32 v20, 0x3ee1c552, v3
	v_dual_fmac_f32 v22, 0x3ee1c552, v3 :: v_dual_sub_f32 v3, v17, v18
	s_delay_alu instid0(VALU_DEP_3) | instskip(SKIP_2) | instid1(VALU_DEP_4)
	v_add_f32_e32 v4, v23, v14
	v_dual_sub_f32 v14, v14, v23 :: v_dual_fmac_f32 v19, 0x3ee1c552, v5
	v_add_f32_e32 v13, v15, v6
	v_sub_f32_e32 v5, v24, v22
	v_sub_f32_e32 v6, v12, v21
	v_add_f32_e32 v12, v21, v12
	v_add_f32_e32 v2, v19, v16
	v_sub_f32_e32 v16, v16, v19
	v_add_f32_e32 v7, v20, v13
	v_sub_f32_e32 v13, v13, v20
	v_add_f32_e32 v15, v22, v24
	v_add_f32_e32 v17, v18, v17
	s_clause 0x6
	global_store_b64 v[10:11], v[0:1], off
	global_store_b64 v[28:29], v[2:3], off
	;; [unrolled: 1-line block ×7, first 2 shown]
.LBB0_20:
	s_nop 0
	s_sendmsg sendmsg(MSG_DEALLOC_VGPRS)
	s_endpgm
	.section	.rodata,"a",@progbits
	.p2align	6, 0x0
	.amdhsa_kernel fft_rtc_fwd_len1008_factors_2_2_2_2_3_3_7_wgs_56_tpt_56_halfLds_sp_op_CI_CI_unitstride_sbrr_dirReg
		.amdhsa_group_segment_fixed_size 0
		.amdhsa_private_segment_fixed_size 0
		.amdhsa_kernarg_size 104
		.amdhsa_user_sgpr_count 15
		.amdhsa_user_sgpr_dispatch_ptr 0
		.amdhsa_user_sgpr_queue_ptr 0
		.amdhsa_user_sgpr_kernarg_segment_ptr 1
		.amdhsa_user_sgpr_dispatch_id 0
		.amdhsa_user_sgpr_private_segment_size 0
		.amdhsa_wavefront_size32 1
		.amdhsa_uses_dynamic_stack 0
		.amdhsa_enable_private_segment 0
		.amdhsa_system_sgpr_workgroup_id_x 1
		.amdhsa_system_sgpr_workgroup_id_y 0
		.amdhsa_system_sgpr_workgroup_id_z 0
		.amdhsa_system_sgpr_workgroup_info 0
		.amdhsa_system_vgpr_workitem_id 0
		.amdhsa_next_free_vgpr 104
		.amdhsa_next_free_sgpr 27
		.amdhsa_reserve_vcc 1
		.amdhsa_float_round_mode_32 0
		.amdhsa_float_round_mode_16_64 0
		.amdhsa_float_denorm_mode_32 3
		.amdhsa_float_denorm_mode_16_64 3
		.amdhsa_dx10_clamp 1
		.amdhsa_ieee_mode 1
		.amdhsa_fp16_overflow 0
		.amdhsa_workgroup_processor_mode 1
		.amdhsa_memory_ordered 1
		.amdhsa_forward_progress 0
		.amdhsa_shared_vgpr_count 0
		.amdhsa_exception_fp_ieee_invalid_op 0
		.amdhsa_exception_fp_denorm_src 0
		.amdhsa_exception_fp_ieee_div_zero 0
		.amdhsa_exception_fp_ieee_overflow 0
		.amdhsa_exception_fp_ieee_underflow 0
		.amdhsa_exception_fp_ieee_inexact 0
		.amdhsa_exception_int_div_zero 0
	.end_amdhsa_kernel
	.text
.Lfunc_end0:
	.size	fft_rtc_fwd_len1008_factors_2_2_2_2_3_3_7_wgs_56_tpt_56_halfLds_sp_op_CI_CI_unitstride_sbrr_dirReg, .Lfunc_end0-fft_rtc_fwd_len1008_factors_2_2_2_2_3_3_7_wgs_56_tpt_56_halfLds_sp_op_CI_CI_unitstride_sbrr_dirReg
                                        ; -- End function
	.section	.AMDGPU.csdata,"",@progbits
; Kernel info:
; codeLenInByte = 11628
; NumSgprs: 29
; NumVgprs: 104
; ScratchSize: 0
; MemoryBound: 0
; FloatMode: 240
; IeeeMode: 1
; LDSByteSize: 0 bytes/workgroup (compile time only)
; SGPRBlocks: 3
; VGPRBlocks: 12
; NumSGPRsForWavesPerEU: 29
; NumVGPRsForWavesPerEU: 104
; Occupancy: 12
; WaveLimiterHint : 1
; COMPUTE_PGM_RSRC2:SCRATCH_EN: 0
; COMPUTE_PGM_RSRC2:USER_SGPR: 15
; COMPUTE_PGM_RSRC2:TRAP_HANDLER: 0
; COMPUTE_PGM_RSRC2:TGID_X_EN: 1
; COMPUTE_PGM_RSRC2:TGID_Y_EN: 0
; COMPUTE_PGM_RSRC2:TGID_Z_EN: 0
; COMPUTE_PGM_RSRC2:TIDIG_COMP_CNT: 0
	.text
	.p2alignl 7, 3214868480
	.fill 96, 4, 3214868480
	.type	__hip_cuid_855b7c65b761e5a1,@object ; @__hip_cuid_855b7c65b761e5a1
	.section	.bss,"aw",@nobits
	.globl	__hip_cuid_855b7c65b761e5a1
__hip_cuid_855b7c65b761e5a1:
	.byte	0                               ; 0x0
	.size	__hip_cuid_855b7c65b761e5a1, 1

	.ident	"AMD clang version 19.0.0git (https://github.com/RadeonOpenCompute/llvm-project roc-6.4.0 25133 c7fe45cf4b819c5991fe208aaa96edf142730f1d)"
	.section	".note.GNU-stack","",@progbits
	.addrsig
	.addrsig_sym __hip_cuid_855b7c65b761e5a1
	.amdgpu_metadata
---
amdhsa.kernels:
  - .args:
      - .actual_access:  read_only
        .address_space:  global
        .offset:         0
        .size:           8
        .value_kind:     global_buffer
      - .offset:         8
        .size:           8
        .value_kind:     by_value
      - .actual_access:  read_only
        .address_space:  global
        .offset:         16
        .size:           8
        .value_kind:     global_buffer
      - .actual_access:  read_only
        .address_space:  global
        .offset:         24
        .size:           8
        .value_kind:     global_buffer
      - .actual_access:  read_only
        .address_space:  global
        .offset:         32
        .size:           8
        .value_kind:     global_buffer
      - .offset:         40
        .size:           8
        .value_kind:     by_value
      - .actual_access:  read_only
        .address_space:  global
        .offset:         48
        .size:           8
        .value_kind:     global_buffer
      - .actual_access:  read_only
        .address_space:  global
        .offset:         56
        .size:           8
        .value_kind:     global_buffer
      - .offset:         64
        .size:           4
        .value_kind:     by_value
      - .actual_access:  read_only
        .address_space:  global
        .offset:         72
        .size:           8
        .value_kind:     global_buffer
      - .actual_access:  read_only
        .address_space:  global
        .offset:         80
        .size:           8
        .value_kind:     global_buffer
      - .actual_access:  read_only
        .address_space:  global
        .offset:         88
        .size:           8
        .value_kind:     global_buffer
      - .actual_access:  write_only
        .address_space:  global
        .offset:         96
        .size:           8
        .value_kind:     global_buffer
    .group_segment_fixed_size: 0
    .kernarg_segment_align: 8
    .kernarg_segment_size: 104
    .language:       OpenCL C
    .language_version:
      - 2
      - 0
    .max_flat_workgroup_size: 56
    .name:           fft_rtc_fwd_len1008_factors_2_2_2_2_3_3_7_wgs_56_tpt_56_halfLds_sp_op_CI_CI_unitstride_sbrr_dirReg
    .private_segment_fixed_size: 0
    .sgpr_count:     29
    .sgpr_spill_count: 0
    .symbol:         fft_rtc_fwd_len1008_factors_2_2_2_2_3_3_7_wgs_56_tpt_56_halfLds_sp_op_CI_CI_unitstride_sbrr_dirReg.kd
    .uniform_work_group_size: 1
    .uses_dynamic_stack: false
    .vgpr_count:     104
    .vgpr_spill_count: 0
    .wavefront_size: 32
    .workgroup_processor_mode: 1
amdhsa.target:   amdgcn-amd-amdhsa--gfx1100
amdhsa.version:
  - 1
  - 2
...

	.end_amdgpu_metadata
